;; amdgpu-corpus repo=ROCm/rocFFT kind=compiled arch=gfx906 opt=O3
	.text
	.amdgcn_target "amdgcn-amd-amdhsa--gfx906"
	.amdhsa_code_object_version 6
	.protected	bluestein_single_back_len204_dim1_sp_op_CI_CI ; -- Begin function bluestein_single_back_len204_dim1_sp_op_CI_CI
	.globl	bluestein_single_back_len204_dim1_sp_op_CI_CI
	.p2align	8
	.type	bluestein_single_back_len204_dim1_sp_op_CI_CI,@function
bluestein_single_back_len204_dim1_sp_op_CI_CI: ; @bluestein_single_back_len204_dim1_sp_op_CI_CI
; %bb.0:
	v_mul_u32_u24_e32 v1, 0xf10, v0
	s_load_dwordx4 s[0:3], s[4:5], 0x28
	v_lshrrev_b32_e32 v1, 16, v1
	v_mad_u64_u32 v[56:57], s[6:7], s6, 7, v[1:2]
	v_mov_b32_e32 v57, 0
	s_waitcnt lgkmcnt(0)
	v_cmp_gt_u64_e32 vcc, s[0:1], v[56:57]
	s_and_saveexec_b64 s[0:1], vcc
	s_cbranch_execz .LBB0_15
; %bb.1:
	s_mov_b32 s0, 0x24924925
	v_mul_hi_u32 v2, v56, s0
	s_load_dwordx2 s[12:13], s[4:5], 0x0
	s_load_dwordx2 s[14:15], s[4:5], 0x38
	v_mul_lo_u16_e32 v1, 17, v1
	v_sub_u16_e32 v77, v0, v1
	v_sub_u32_e32 v3, v56, v2
	v_lshrrev_b32_e32 v3, 1, v3
	v_add_u32_e32 v2, v3, v2
	v_lshrrev_b32_e32 v2, 2, v2
	v_mul_lo_u32 v2, v2, 7
	v_cmp_gt_u16_e32 vcc, 12, v77
	v_lshlrev_b32_e32 v78, 3, v77
	v_or_b32_e32 v79, 48, v77
	v_sub_u32_e32 v0, v56, v2
	v_mul_u32_u24_e32 v80, 0xcc, v0
	v_lshlrev_b32_e32 v81, 3, v80
	s_and_saveexec_b64 s[6:7], vcc
	s_cbranch_execz .LBB0_3
; %bb.2:
	s_load_dwordx2 s[0:1], s[4:5], 0x18
	s_waitcnt lgkmcnt(0)
	s_load_dwordx4 s[8:11], s[0:1], 0x0
	s_waitcnt lgkmcnt(0)
	v_mad_u64_u32 v[0:1], s[0:1], s10, v56, 0
	v_mad_u64_u32 v[2:3], s[0:1], s8, v77, 0
	;; [unrolled: 1-line block ×3, first 2 shown]
	s_mul_i32 s11, s8, 0xc0
	v_mad_u64_u32 v[5:6], s[0:1], s9, v77, v[3:4]
	v_mov_b32_e32 v1, v4
	v_lshlrev_b64 v[0:1], 3, v[0:1]
	v_mov_b32_e32 v3, v5
	v_mov_b32_e32 v6, s3
	v_lshlrev_b64 v[2:3], 3, v[2:3]
	v_add_co_u32_e64 v74, s[0:1], s2, v0
	v_addc_co_u32_e64 v75, s[0:1], v6, v1, s[0:1]
	v_add_co_u32_e64 v0, s[0:1], v74, v2
	v_addc_co_u32_e64 v1, s[0:1], v75, v3, s[0:1]
	s_mul_i32 s0, s9, 0x60
	s_mul_hi_u32 s3, s8, 0x60
	s_add_i32 s3, s3, s0
	s_mul_i32 s2, s8, 0x60
	v_mov_b32_e32 v3, s3
	v_add_co_u32_e64 v2, s[0:1], s2, v0
	v_addc_co_u32_e64 v3, s[0:1], v1, v3, s[0:1]
	v_mov_b32_e32 v5, s3
	v_add_co_u32_e64 v4, s[0:1], s2, v2
	v_addc_co_u32_e64 v5, s[0:1], v3, v5, s[0:1]
	;; [unrolled: 3-line block ×3, first 2 shown]
	v_mad_u64_u32 v[8:9], s[0:1], s8, v79, 0
	global_load_dwordx2 v[10:11], v[0:1], off
	global_load_dwordx2 v[12:13], v[2:3], off
	global_load_dwordx2 v[14:15], v[4:5], off
	global_load_dwordx2 v[16:17], v[6:7], off
	v_mov_b32_e32 v0, v9
	v_mad_u64_u32 v[0:1], s[0:1], s9, v79, v[0:1]
	global_load_dwordx2 v[1:2], v78, s[12:13]
	global_load_dwordx2 v[3:4], v78, s[12:13] offset:96
	global_load_dwordx2 v[18:19], v78, s[12:13] offset:192
	;; [unrolled: 1-line block ×3, first 2 shown]
	v_mov_b32_e32 v9, v0
	v_lshlrev_b64 v[8:9], 3, v[8:9]
	v_add_co_u32_e64 v8, s[0:1], v74, v8
	v_addc_co_u32_e64 v9, s[0:1], v75, v9, s[0:1]
	s_mul_i32 s0, s9, 0xc0
	s_mul_hi_u32 s1, s8, 0xc0
	s_add_i32 s10, s1, s0
	v_mov_b32_e32 v0, s10
	v_add_co_u32_e64 v5, s[0:1], s11, v6
	v_addc_co_u32_e64 v6, s[0:1], v7, v0, s[0:1]
	global_load_dwordx2 v[22:23], v[8:9], off
	global_load_dwordx2 v[24:25], v[5:6], off
	v_mov_b32_e32 v0, s3
	v_add_co_u32_e64 v5, s[0:1], s2, v5
	v_or_b32_e32 v9, 0x60, v77
	v_addc_co_u32_e64 v6, s[0:1], v6, v0, s[0:1]
	v_mad_u64_u32 v[26:27], s[0:1], s8, v9, 0
	global_load_dwordx2 v[7:8], v[5:6], off
	v_add_co_u32_e64 v5, s[0:1], s2, v5
	v_addc_co_u32_e64 v6, s[0:1], v6, v0, s[0:1]
	v_mov_b32_e32 v0, v27
	global_load_dwordx2 v[28:29], v[5:6], off
	s_waitcnt vmcnt(7)
	v_mad_u64_u32 v[30:31], s[0:1], s9, v9, v[0:1]
	v_mov_b32_e32 v0, s10
	global_load_dwordx2 v[31:32], v78, s[12:13] offset:384
	global_load_dwordx2 v[33:34], v78, s[12:13] offset:480
	;; [unrolled: 1-line block ×4, first 2 shown]
	v_mov_b32_e32 v27, v30
	v_lshlrev_b64 v[26:27], 3, v[26:27]
	v_or_b32_e32 v9, 0x90, v77
	v_add_co_u32_e64 v26, s[0:1], v74, v26
	v_addc_co_u32_e64 v27, s[0:1], v75, v27, s[0:1]
	v_add_co_u32_e64 v5, s[0:1], s11, v5
	v_addc_co_u32_e64 v6, s[0:1], v6, v0, s[0:1]
	global_load_dwordx2 v[39:40], v[5:6], off
	v_mov_b32_e32 v0, s3
	v_add_co_u32_e64 v5, s[0:1], s2, v5
	v_addc_co_u32_e64 v6, s[0:1], v6, v0, s[0:1]
	v_mad_u64_u32 v[43:44], s[0:1], s8, v9, 0
	global_load_dwordx2 v[41:42], v[5:6], off
	v_add_co_u32_e64 v5, s[0:1], s2, v5
	v_addc_co_u32_e64 v6, s[0:1], v6, v0, s[0:1]
	v_mov_b32_e32 v0, v44
	v_mad_u64_u32 v[47:48], s[0:1], s9, v9, v[0:1]
	global_load_dwordx2 v[45:46], v[5:6], off
	v_mov_b32_e32 v0, s10
	v_mov_b32_e32 v44, v47
	v_lshlrev_b64 v[43:44], 3, v[43:44]
	global_load_dwordx2 v[26:27], v[26:27], off
	v_add_co_u32_e64 v43, s[0:1], v74, v43
	v_addc_co_u32_e64 v44, s[0:1], v75, v44, s[0:1]
	v_add_co_u32_e64 v5, s[0:1], s11, v5
	v_addc_co_u32_e64 v6, s[0:1], v6, v0, s[0:1]
	global_load_dwordx2 v[48:49], v78, s[12:13] offset:768
	global_load_dwordx2 v[50:51], v78, s[12:13] offset:864
	;; [unrolled: 1-line block ×4, first 2 shown]
	global_load_dwordx2 v[57:58], v[43:44], off
	global_load_dwordx2 v[59:60], v78, s[12:13] offset:1152
	v_mov_b32_e32 v0, s3
	global_load_dwordx2 v[43:44], v[5:6], off
	v_add_co_u32_e64 v5, s[0:1], s2, v5
	v_or_b32_e32 v9, 0xc0, v77
	v_addc_co_u32_e64 v6, s[0:1], v6, v0, s[0:1]
	v_mad_u64_u32 v[63:64], s[0:1], s8, v9, 0
	global_load_dwordx2 v[61:62], v[5:6], off
	v_add_co_u32_e64 v5, s[0:1], s2, v5
	v_addc_co_u32_e64 v6, s[0:1], v6, v0, s[0:1]
	v_mov_b32_e32 v0, v64
	v_mad_u64_u32 v[67:68], s[0:1], s9, v9, v[0:1]
	global_load_dwordx2 v[65:66], v78, s[12:13] offset:1248
	global_load_dwordx2 v[68:69], v[5:6], off
	global_load_dwordx2 v[70:71], v78, s[12:13] offset:1344
	global_load_dwordx2 v[72:73], v78, s[12:13] offset:1440
	v_mov_b32_e32 v64, v67
	v_lshlrev_b64 v[5:6], 3, v[63:64]
	v_mul_f32_e32 v0, v11, v2
	v_add_co_u32_e64 v5, s[0:1], v74, v5
	v_addc_co_u32_e64 v6, s[0:1], v75, v6, s[0:1]
	global_load_dwordx2 v[63:64], v[5:6], off
	global_load_dwordx2 v[74:75], v78, s[12:13] offset:1536
	v_mul_f32_e32 v2, v10, v2
	v_fmac_f32_e32 v0, v10, v1
	v_lshl_add_u32 v5, v77, 3, v81
	v_fma_f32 v1, v11, v1, -v2
	ds_write_b64 v5, v[0:1]
	s_waitcnt vmcnt(28)
	v_mul_f32_e32 v0, v13, v4
	v_mul_f32_e32 v1, v12, v4
	v_fmac_f32_e32 v0, v12, v3
	v_fma_f32 v1, v13, v3, -v1
	s_waitcnt vmcnt(27)
	v_mul_f32_e32 v2, v15, v19
	v_mul_f32_e32 v3, v14, v19
	v_add_u32_e32 v5, v81, v78
	v_fmac_f32_e32 v2, v14, v18
	v_fma_f32 v3, v15, v18, -v3
	ds_write2_b64 v5, v[0:1], v[2:3] offset0:12 offset1:24
	s_waitcnt vmcnt(26)
	v_mul_f32_e32 v0, v17, v21
	v_mul_f32_e32 v1, v16, v21
	s_waitcnt vmcnt(21)
	v_mul_f32_e32 v2, v23, v32
	v_mul_f32_e32 v3, v22, v32
	v_fmac_f32_e32 v0, v16, v20
	v_fma_f32 v1, v17, v20, -v1
	v_fmac_f32_e32 v2, v22, v31
	v_fma_f32 v3, v23, v31, -v3
	ds_write2_b64 v5, v[0:1], v[2:3] offset0:36 offset1:48
	s_waitcnt vmcnt(20)
	v_mul_f32_e32 v0, v25, v34
	v_mul_f32_e32 v1, v24, v34
	s_waitcnt vmcnt(19)
	v_mul_f32_e32 v2, v8, v36
	v_mul_f32_e32 v3, v7, v36
	v_fmac_f32_e32 v0, v24, v33
	v_fma_f32 v1, v25, v33, -v1
	v_fmac_f32_e32 v2, v7, v35
	v_fma_f32 v3, v8, v35, -v3
	ds_write2_b64 v5, v[0:1], v[2:3] offset0:60 offset1:72
	s_waitcnt vmcnt(18)
	v_mul_f32_e32 v0, v29, v38
	v_mul_f32_e32 v1, v28, v38
	v_fmac_f32_e32 v0, v28, v37
	v_fma_f32 v1, v29, v37, -v1
	s_waitcnt vmcnt(13)
	v_mul_f32_e32 v2, v27, v49
	v_mul_f32_e32 v3, v26, v49
	v_fmac_f32_e32 v2, v26, v48
	v_fma_f32 v3, v27, v48, -v3
	ds_write2_b64 v5, v[0:1], v[2:3] offset0:84 offset1:96
	s_waitcnt vmcnt(12)
	v_mul_f32_e32 v0, v40, v51
	v_mul_f32_e32 v1, v39, v51
	s_waitcnt vmcnt(11)
	v_mul_f32_e32 v2, v42, v53
	v_mul_f32_e32 v3, v41, v53
	v_fmac_f32_e32 v0, v39, v50
	v_fma_f32 v1, v40, v50, -v1
	v_fmac_f32_e32 v2, v41, v52
	v_fma_f32 v3, v42, v52, -v3
	ds_write2_b64 v5, v[0:1], v[2:3] offset0:108 offset1:120
	s_waitcnt vmcnt(10)
	v_mul_f32_e32 v0, v46, v55
	v_mul_f32_e32 v1, v45, v55
	s_waitcnt vmcnt(8)
	v_mul_f32_e32 v2, v58, v60
	v_mul_f32_e32 v3, v57, v60
	v_fmac_f32_e32 v0, v45, v54
	v_fma_f32 v1, v46, v54, -v1
	;; [unrolled: 11-line block ×4, first 2 shown]
	v_fmac_f32_e32 v2, v63, v74
	v_fma_f32 v3, v64, v74, -v3
	ds_write2_b64 v5, v[0:1], v[2:3] offset0:180 offset1:192
.LBB0_3:
	s_or_b64 exec, exec, s[6:7]
	s_load_dwordx2 s[0:1], s[4:5], 0x20
	s_load_dwordx2 s[2:3], s[4:5], 0x8
	v_mov_b32_e32 v8, 0
	v_mov_b32_e32 v9, 0
	s_waitcnt lgkmcnt(0)
	s_barrier
	s_waitcnt lgkmcnt(0)
                                        ; implicit-def: $vgpr14
                                        ; implicit-def: $vgpr24
                                        ; implicit-def: $vgpr36
                                        ; implicit-def: $vgpr40
                                        ; implicit-def: $vgpr34
                                        ; implicit-def: $vgpr30
                                        ; implicit-def: $vgpr22
                                        ; implicit-def: $vgpr18
	s_and_saveexec_b64 s[4:5], vcc
	s_cbranch_execz .LBB0_5
; %bb.4:
	v_lshl_add_u32 v0, v80, 3, v78
	ds_read2_b64 v[8:11], v0 offset1:12
	ds_read2_b64 v[16:19], v0 offset0:24 offset1:36
	ds_read2_b64 v[20:23], v0 offset0:48 offset1:60
	;; [unrolled: 1-line block ×7, first 2 shown]
	ds_read_b64 v[40:41], v0 offset:1536
.LBB0_5:
	s_or_b64 exec, exec, s[4:5]
	s_waitcnt lgkmcnt(0)
	v_sub_f32_e32 v69, v11, v41
	v_mul_f32_e32 v48, 0xbeb8f4ab, v69
	v_sub_f32_e32 v76, v17, v39
	v_add_f32_e32 v44, v40, v10
	v_sub_f32_e32 v74, v10, v40
	v_mov_b32_e32 v0, v48
	v_mul_f32_e32 v52, 0xbf2c7751, v76
	v_add_f32_e32 v45, v41, v11
	s_mov_b32 s6, 0x3f6eb680
	v_mul_f32_e32 v50, 0xbeb8f4ab, v74
	v_fmac_f32_e32 v0, 0x3f6eb680, v44
	v_add_f32_e32 v46, v38, v16
	v_sub_f32_e32 v84, v16, v38
	v_mov_b32_e32 v2, v52
	v_add_f32_e32 v0, v0, v8
	v_fma_f32 v1, v45, s6, -v50
	s_mov_b32 s7, 0x3f3d2fb0
	v_add_f32_e32 v47, v39, v17
	v_mul_f32_e32 v54, 0xbf2c7751, v84
	v_fmac_f32_e32 v2, 0x3f3d2fb0, v46
	v_sub_f32_e32 v86, v19, v37
	v_add_f32_e32 v1, v1, v9
	v_add_f32_e32 v0, v2, v0
	v_fma_f32 v2, v47, s7, -v54
	v_mul_f32_e32 v59, 0xbf65296c, v86
	v_add_f32_e32 v1, v2, v1
	v_add_f32_e32 v49, v36, v18
	v_sub_f32_e32 v88, v18, v36
	v_mov_b32_e32 v2, v59
	s_mov_b32 s8, 0x3ee437d1
	v_add_f32_e32 v51, v37, v19
	v_mul_f32_e32 v61, 0xbf65296c, v88
	v_fmac_f32_e32 v2, 0x3ee437d1, v49
	v_sub_f32_e32 v89, v21, v27
	v_add_f32_e32 v0, v2, v0
	v_fma_f32 v2, v51, s8, -v61
	v_mul_f32_e32 v63, 0xbf7ee86f, v89
	v_add_f32_e32 v1, v2, v1
	v_add_f32_e32 v53, v26, v20
	v_sub_f32_e32 v91, v20, v26
	v_mov_b32_e32 v2, v63
	s_mov_b32 s9, 0x3dbcf732
	v_add_f32_e32 v55, v27, v21
	v_mul_f32_e32 v65, 0xbf7ee86f, v91
	v_fmac_f32_e32 v2, 0x3dbcf732, v53
	v_sub_f32_e32 v94, v23, v25
	;; [unrolled: 12-line block ×5, first 2 shown]
	v_add_f32_e32 v0, v2, v0
	v_fma_f32 v2, v71, s17, -v85
	v_mul_f32_e32 v87, 0xbe3c28d5, v122
	v_add_f32_e32 v1, v2, v1
	v_add_f32_e32 v72, v34, v32
	v_mov_b32_e32 v2, v87
	v_sub_f32_e32 v127, v32, v34
	s_mov_b32 s11, 0xbf7ba420
	v_fmac_f32_e32 v2, 0xbf7ba420, v72
	v_add_f32_e32 v82, v35, v33
	v_mul_f32_e32 v90, 0xbe3c28d5, v127
	v_add_f32_e32 v57, v2, v0
	v_fma_f32 v0, v82, s11, -v90
	v_mul_f32_e32 v92, 0xbf2c7751, v69
	v_add_f32_e32 v58, v0, v1
	v_mov_b32_e32 v0, v92
	v_mul_f32_e32 v93, 0xbf7ee86f, v76
	v_fmac_f32_e32 v0, 0x3f3d2fb0, v44
	v_mov_b32_e32 v1, v93
	v_add_f32_e32 v0, v0, v8
	v_fmac_f32_e32 v1, 0x3dbcf732, v46
	v_mul_f32_e32 v98, 0xbf2c7751, v74
	v_add_f32_e32 v0, v1, v0
	v_fma_f32 v1, v45, s7, -v98
	v_mul_f32_e32 v99, 0xbf7ee86f, v84
	v_add_f32_e32 v1, v1, v9
	v_fma_f32 v2, v47, s9, -v99
	v_mul_f32_e32 v95, 0xbf4c4adb, v86
	v_add_f32_e32 v1, v2, v1
	v_mov_b32_e32 v2, v95
	v_fmac_f32_e32 v2, 0xbf1a4643, v49
	v_mul_f32_e32 v102, 0xbf4c4adb, v88
	v_add_f32_e32 v0, v2, v0
	v_fma_f32 v2, v51, s16, -v102
	v_mul_f32_e32 v96, 0xbe3c28d5, v89
	v_add_f32_e32 v1, v2, v1
	v_mov_b32_e32 v2, v96
	v_fmac_f32_e32 v2, 0xbf7ba420, v53
	;; [unrolled: 7-line block ×6, first 2 shown]
	v_mul_f32_e32 v110, 0x3eb8f4ab, v127
	v_mul_f32_e32 v113, 0xbf65296c, v69
	v_fma_f32 v3, v82, s6, -v110
	v_add_f32_e32 v2, v2, v0
	v_mov_b32_e32 v0, v113
	v_mul_f32_e32 v114, 0xbf4c4adb, v76
	v_add_f32_e32 v3, v3, v1
	v_fmac_f32_e32 v0, 0x3ee437d1, v44
	v_mov_b32_e32 v1, v114
	v_add_f32_e32 v0, v0, v8
	v_fmac_f32_e32 v1, 0xbf1a4643, v46
	v_mul_f32_e32 v115, 0x3e3c28d5, v86
	v_add_f32_e32 v0, v1, v0
	v_mov_b32_e32 v1, v115
	v_fmac_f32_e32 v1, 0xbf7ba420, v49
	v_mul_f32_e32 v116, 0x3f763a35, v89
	v_add_f32_e32 v0, v1, v0
	v_mov_b32_e32 v1, v116
	v_fmac_f32_e32 v1, 0xbe8c1d8e, v53
	v_mul_f32_e32 v117, 0x3f2c7751, v94
	v_add_f32_e32 v0, v1, v0
	v_mov_b32_e32 v1, v117
	v_fmac_f32_e32 v1, 0x3f3d2fb0, v60
	v_mul_f32_e32 v119, 0xbeb8f4ab, v106
	v_add_f32_e32 v0, v1, v0
	v_mov_b32_e32 v1, v119
	v_fmac_f32_e32 v1, 0x3f6eb680, v64
	v_mul_f32_e32 v120, 0xbf7ee86f, v112
	v_add_f32_e32 v0, v1, v0
	v_mov_b32_e32 v1, v120
	v_fmac_f32_e32 v1, 0x3dbcf732, v67
	v_mul_f32_e32 v121, 0xbf06c442, v122
	v_add_f32_e32 v0, v1, v0
	v_mov_b32_e32 v1, v121
	v_fmac_f32_e32 v1, 0xbf59a7d5, v72
	v_mul_f32_e32 v123, 0xbf65296c, v74
	v_add_f32_e32 v0, v1, v0
	v_fma_f32 v1, v45, s8, -v123
	v_mul_f32_e32 v124, 0xbf4c4adb, v84
	v_add_f32_e32 v1, v1, v9
	v_fma_f32 v4, v47, s16, -v124
	v_mul_f32_e32 v125, 0x3e3c28d5, v88
	v_add_f32_e32 v1, v4, v1
	v_fma_f32 v4, v51, s11, -v125
	v_mul_f32_e32 v126, 0x3f763a35, v91
	v_add_f32_e32 v1, v4, v1
	v_fma_f32 v4, v55, s10, -v126
	v_mul_f32_e32 v128, 0x3f2c7751, v101
	v_add_f32_e32 v1, v4, v1
	v_fma_f32 v4, v62, s7, -v128
	v_mul_f32_e32 v129, 0xbeb8f4ab, v111
	v_add_f32_e32 v1, v4, v1
	v_fma_f32 v4, v66, s6, -v129
	v_mul_f32_e32 v130, 0xbf7ee86f, v118
	v_add_f32_e32 v1, v4, v1
	v_fma_f32 v4, v71, s9, -v130
	v_mul_f32_e32 v131, 0xbf06c442, v127
	v_add_f32_e32 v1, v4, v1
	v_fma_f32 v4, v82, s17, -v131
	v_mul_f32_e32 v132, 0xbf7ee86f, v69
	v_add_f32_e32 v1, v4, v1
	v_mov_b32_e32 v4, v132
	v_mul_f32_e32 v133, 0xbe3c28d5, v76
	v_fmac_f32_e32 v4, 0x3dbcf732, v44
	v_mov_b32_e32 v5, v133
	v_add_f32_e32 v4, v4, v8
	v_fmac_f32_e32 v5, 0xbf7ba420, v46
	v_mul_f32_e32 v137, 0xbf7ee86f, v74
	v_add_f32_e32 v4, v5, v4
	v_fma_f32 v5, v45, s9, -v137
	v_mul_f32_e32 v138, 0xbe3c28d5, v84
	v_add_f32_e32 v5, v5, v9
	v_fma_f32 v6, v47, s11, -v138
	v_mul_f32_e32 v134, 0x3f763a35, v86
	v_add_f32_e32 v5, v6, v5
	v_mov_b32_e32 v6, v134
	v_fmac_f32_e32 v6, 0xbe8c1d8e, v49
	v_mul_f32_e32 v141, 0x3f763a35, v88
	v_add_f32_e32 v4, v6, v4
	v_fma_f32 v6, v51, s10, -v141
	v_mul_f32_e32 v135, 0x3eb8f4ab, v89
	v_add_f32_e32 v5, v6, v5
	v_mov_b32_e32 v6, v135
	v_fmac_f32_e32 v6, 0x3f6eb680, v53
	;; [unrolled: 7-line block ×6, first 2 shown]
	v_mul_f32_e32 v153, 0x3f2c7751, v127
	v_mul_f32_e32 v157, 0xbf763a35, v69
	v_fma_f32 v7, v82, s7, -v153
	v_add_f32_e32 v6, v6, v4
	v_mov_b32_e32 v4, v157
	v_mul_f32_e32 v158, 0x3f06c442, v76
	v_add_f32_e32 v7, v7, v5
	v_fmac_f32_e32 v4, 0xbe8c1d8e, v44
	v_mov_b32_e32 v5, v158
	v_add_f32_e32 v4, v4, v8
	v_fmac_f32_e32 v5, 0xbf59a7d5, v46
	v_mul_f32_e32 v159, 0x3f2c7751, v86
	v_add_f32_e32 v4, v5, v4
	v_mov_b32_e32 v5, v159
	v_fmac_f32_e32 v5, 0x3f3d2fb0, v49
	v_mul_f32_e32 v160, 0xbf65296c, v89
	v_add_f32_e32 v4, v5, v4
	v_mov_b32_e32 v5, v160
	;; [unrolled: 4-line block ×6, first 2 shown]
	v_fmac_f32_e32 v5, 0xbf1a4643, v72
	v_mul_f32_e32 v167, 0xbf763a35, v74
	v_add_f32_e32 v4, v5, v4
	v_fma_f32 v5, v45, s10, -v167
	v_mul_f32_e32 v168, 0x3f06c442, v84
	v_add_f32_e32 v5, v5, v9
	v_fma_f32 v42, v47, s17, -v168
	;; [unrolled: 3-line block ×8, first 2 shown]
	v_add_f32_e32 v5, v42, v5
	s_barrier
	s_and_saveexec_b64 s[4:5], vcc
	s_cbranch_execz .LBB0_7
; %bb.6:
	v_mul_f32_e32 v177, 0xbf59a7d5, v45
	v_mov_b32_e32 v42, v177
	v_mul_f32_e32 v178, 0x3ee437d1, v47
	v_fmac_f32_e32 v42, 0x3f06c442, v74
	v_mov_b32_e32 v43, v178
	v_add_f32_e32 v42, v42, v9
	v_fmac_f32_e32 v43, 0xbf65296c, v84
	v_mul_f32_e32 v179, 0x3dbcf732, v51
	v_add_f32_e32 v42, v43, v42
	v_mov_b32_e32 v43, v179
	v_fmac_f32_e32 v43, 0x3f7ee86f, v88
	v_mul_f32_e32 v180, 0xbf1a4643, v55
	v_add_f32_e32 v42, v43, v42
	v_mov_b32_e32 v43, v180
	;; [unrolled: 4-line block ×7, first 2 shown]
	v_mul_f32_e32 v226, 0x3f65296c, v76
	v_fmac_f32_e32 v42, 0xbf59a7d5, v44
	v_mov_b32_e32 v173, v226
	v_add_f32_e32 v42, v42, v8
	v_fmac_f32_e32 v173, 0x3ee437d1, v46
	v_mul_f32_e32 v227, 0xbf7ee86f, v86
	v_add_f32_e32 v42, v173, v42
	v_mov_b32_e32 v173, v227
	v_fmac_f32_e32 v173, 0x3dbcf732, v49
	v_mul_f32_e32 v228, 0x3f4c4adb, v89
	v_add_f32_e32 v42, v173, v42
	v_mov_b32_e32 v173, v228
	;; [unrolled: 4-line block ×7, first 2 shown]
	v_mul_f32_e32 v176, 0x3f6eb680, v47
	v_fmac_f32_e32 v173, 0x3e3c28d5, v74
	v_mov_b32_e32 v174, v176
	v_add_f32_e32 v173, v173, v9
	v_fmac_f32_e32 v174, 0xbeb8f4ab, v84
	v_mul_f32_e32 v233, 0xbf59a7d5, v51
	v_add_f32_e32 v173, v174, v173
	v_mov_b32_e32 v174, v233
	v_fmac_f32_e32 v174, 0x3f06c442, v88
	v_mul_f32_e32 v234, 0x3f3d2fb0, v55
	v_fmac_f32_e32 v177, 0xbf06c442, v74
	v_add_f32_e32 v173, v174, v173
	v_mov_b32_e32 v174, v234
	v_add_f32_e32 v177, v177, v9
	v_fmac_f32_e32 v178, 0x3f65296c, v84
	v_fmac_f32_e32 v174, 0xbf2c7751, v91
	v_mul_f32_e32 v235, 0xbf1a4643, v62
	v_add_f32_e32 v177, v178, v177
	v_fmac_f32_e32 v179, 0xbf7ee86f, v88
	v_add_f32_e32 v173, v174, v173
	v_mov_b32_e32 v174, v235
	v_add_f32_e32 v177, v179, v177
	v_fmac_f32_e32 v180, 0x3f4c4adb, v91
	v_fma_f32 v178, v44, s17, -v225
	v_fmac_f32_e32 v174, 0x3f4c4adb, v101
	v_mul_f32_e32 v236, 0x3ee437d1, v66
	v_add_f32_e32 v177, v180, v177
	v_fmac_f32_e32 v221, 0xbeb8f4ab, v101
	v_add_f32_e32 v178, v178, v8
	v_fma_f32 v179, v46, s8, -v226
	v_add_f32_e32 v173, v174, v173
	v_mov_b32_e32 v174, v236
	v_add_f32_e32 v177, v221, v177
	v_fmac_f32_e32 v222, 0xbe3c28d5, v111
	v_add_f32_e32 v178, v179, v178
	v_fma_f32 v179, v49, s9, -v227
	v_fmac_f32_e32 v174, 0xbf65296c, v111
	v_mul_f32_e32 v237, 0xbe8c1d8e, v71
	v_add_f32_e32 v177, v222, v177
	v_fmac_f32_e32 v223, 0x3f2c7751, v118
	v_add_f32_e32 v178, v179, v178
	v_fma_f32 v179, v53, s16, -v228
	v_add_f32_e32 v173, v174, v173
	v_mov_b32_e32 v174, v237
	v_add_f32_e32 v177, v223, v177
	v_add_f32_e32 v178, v179, v178
	v_fma_f32 v179, v60, s6, -v229
	v_fmac_f32_e32 v224, 0xbf763a35, v127
	v_fmac_f32_e32 v174, 0x3f763a35, v118
	v_mul_f32_e32 v238, 0x3dbcf732, v82
	v_add_f32_e32 v179, v179, v178
	v_add_f32_e32 v178, v224, v177
	v_fma_f32 v177, v64, s11, -v230
	v_add_f32_e32 v173, v174, v173
	v_mov_b32_e32 v174, v238
	v_add_f32_e32 v177, v177, v179
	v_fma_f32 v179, v67, s7, -v231
	v_fmac_f32_e32 v174, 0xbf7ee86f, v127
	v_mul_f32_e32 v239, 0xbe3c28d5, v69
	v_fmac_f32_e32 v175, 0xbe3c28d5, v74
	v_add_f32_e32 v177, v179, v177
	v_fma_f32 v179, v72, s10, -v232
	v_mul_f32_e32 v74, 0xbf4c4adb, v74
	v_add_f32_e32 v174, v174, v173
	v_mov_b32_e32 v173, v239
	v_mul_f32_e32 v240, 0x3eb8f4ab, v76
	v_fmac_f32_e32 v176, 0x3eb8f4ab, v84
	v_add_f32_e32 v177, v179, v177
	v_mov_b32_e32 v179, v74
	v_mul_f32_e32 v84, 0x3f763a35, v84
	v_fmac_f32_e32 v173, 0xbf7ba420, v44
	v_mov_b32_e32 v241, v240
	v_fmac_f32_e32 v179, 0xbf1a4643, v45
	v_mov_b32_e32 v180, v84
	v_mul_f32_e32 v224, 0xbeb8f4ab, v88
	v_add_f32_e32 v173, v173, v8
	v_fmac_f32_e32 v241, 0x3f6eb680, v46
	v_fmac_f32_e32 v233, 0xbf06c442, v88
	v_add_f32_e32 v179, v179, v9
	v_fmac_f32_e32 v180, 0xbe8c1d8e, v47
	v_mov_b32_e32 v88, v224
	v_add_f32_e32 v173, v241, v173
	v_mul_f32_e32 v241, 0xbf06c442, v86
	v_fmac_f32_e32 v234, 0x3f2c7751, v91
	v_add_f32_e32 v179, v180, v179
	v_fmac_f32_e32 v88, 0x3f6eb680, v51
	v_mul_f32_e32 v91, 0xbf06c442, v91
	v_mov_b32_e32 v242, v241
	v_add_f32_e32 v88, v88, v179
	v_mov_b32_e32 v179, v91
	v_fmac_f32_e32 v242, 0xbf59a7d5, v49
	v_fmac_f32_e32 v235, 0xbf4c4adb, v101
	;; [unrolled: 1-line block ×3, first 2 shown]
	v_mul_f32_e32 v101, 0x3f7ee86f, v101
	v_add_f32_e32 v173, v242, v173
	v_mul_f32_e32 v242, 0x3f2c7751, v89
	v_add_f32_e32 v88, v179, v88
	v_mov_b32_e32 v179, v101
	v_mul_f32_e32 v229, 0xbf2c7751, v111
	v_mov_b32_e32 v243, v242
	v_fmac_f32_e32 v236, 0x3f65296c, v111
	v_fmac_f32_e32 v179, 0x3dbcf732, v62
	v_mov_b32_e32 v111, v229
	v_fmac_f32_e32 v243, 0x3f3d2fb0, v53
	v_add_f32_e32 v88, v179, v88
	v_fmac_f32_e32 v111, 0x3f3d2fb0, v66
	v_mul_f32_e32 v230, 0xbe3c28d5, v118
	v_add_f32_e32 v173, v243, v173
	v_mul_f32_e32 v243, 0xbf4c4adb, v94
	v_add_f32_e32 v88, v111, v88
	v_mov_b32_e32 v111, v230
	v_mov_b32_e32 v244, v243
	v_fmac_f32_e32 v238, 0x3f7ee86f, v127
	v_fmac_f32_e32 v111, 0xbf7ba420, v71
	v_mul_f32_e32 v127, 0x3f65296c, v127
	v_fmac_f32_e32 v244, 0xbf1a4643, v60
	v_add_f32_e32 v88, v111, v88
	v_mov_b32_e32 v111, v127
	v_mul_f32_e32 v231, 0xbf4c4adb, v69
	v_add_f32_e32 v173, v244, v173
	v_mul_f32_e32 v244, 0x3f65296c, v106
	v_fmac_f32_e32 v111, 0x3ee437d1, v82
	v_fma_f32 v69, v44, s16, -v231
	v_mul_f32_e32 v76, 0x3f763a35, v76
	v_mov_b32_e32 v245, v244
	v_add_f32_e32 v180, v111, v88
	v_add_f32_e32 v69, v69, v8
	v_fma_f32 v88, v46, s10, -v76
	v_mul_f32_e32 v86, 0xbeb8f4ab, v86
	v_fmac_f32_e32 v245, 0x3ee437d1, v64
	v_add_f32_e32 v69, v88, v69
	v_fma_f32 v88, v49, s6, -v86
	v_mul_f32_e32 v232, 0xbf06c442, v89
	v_add_f32_e32 v173, v245, v173
	v_mul_f32_e32 v245, 0xbf763a35, v112
	v_add_f32_e32 v69, v88, v69
	v_fma_f32 v88, v53, s17, -v232
	v_mul_f32_e32 v252, 0x3f7ee86f, v94
	v_mov_b32_e32 v246, v245
	v_add_f32_e32 v69, v88, v69
	v_fma_f32 v88, v60, s9, -v252
	v_mul_f32_e32 v106, 0xbf2c7751, v106
	v_fmac_f32_e32 v246, 0xbe8c1d8e, v67
	v_add_f32_e32 v69, v88, v69
	v_fma_f32 v88, v64, s7, -v106
	v_mul_f32_e32 v253, 0xbe3c28d5, v112
	v_add_f32_e32 v173, v246, v173
	v_mul_f32_e32 v246, 0x3f7ee86f, v122
	v_add_f32_e32 v69, v88, v69
	v_fma_f32 v88, v67, s11, -v253
	v_mul_f32_e32 v122, 0x3f65296c, v122
	v_mul_f32_e32 v187, 0xbe8c1d8e, v45
	v_add_f32_e32 v175, v175, v9
	v_add_f32_e32 v69, v88, v69
	v_fma_f32 v88, v72, s8, -v122
	v_mul_f32_e32 v195, 0xbf59a7d5, v47
	v_add_f32_e32 v175, v176, v175
	v_fma_f32 v176, v44, s11, -v239
	v_add_f32_e32 v179, v88, v69
	v_add_f32_e32 v88, v167, v187
	v_mul_f32_e32 v203, 0x3f3d2fb0, v51
	v_mov_b32_e32 v247, v246
	v_add_f32_e32 v176, v176, v8
	v_fma_f32 v239, v46, s6, -v240
	v_add_f32_e32 v89, v168, v195
	v_add_f32_e32 v88, v88, v9
	v_mul_f32_e32 v212, 0x3ee437d1, v55
	v_fmac_f32_e32 v247, 0x3dbcf732, v72
	v_fmac_f32_e32 v237, 0xbf763a35, v118
	v_add_f32_e32 v176, v239, v176
	v_fma_f32 v240, v49, s17, -v241
	v_add_f32_e32 v88, v89, v88
	v_add_f32_e32 v118, v165, v203
	;; [unrolled: 1-line block ×3, first 2 shown]
	v_mul_f32_e32 v247, 0xbf7ba420, v62
	v_add_f32_e32 v176, v240, v176
	v_fma_f32 v241, v53, s7, -v242
	v_add_f32_e32 v88, v118, v88
	v_add_f32_e32 v118, v166, v212
	;; [unrolled: 1-line block ×3, first 2 shown]
	v_mul_f32_e32 v241, 0x3dbcf732, v66
	v_add_f32_e32 v88, v118, v88
	v_add_f32_e32 v118, v169, v247
	v_mul_f32_e32 v222, 0x3f6eb680, v71
	v_add_f32_e32 v88, v118, v88
	v_add_f32_e32 v118, v170, v241
	;; [unrolled: 3-line block ×4, first 2 shown]
	v_mul_f32_e32 v194, 0xbf59a7d5, v46
	v_add_f32_e32 v89, v89, v88
	v_sub_f32_e32 v88, v186, v157
	v_mul_f32_e32 v202, 0x3f3d2fb0, v49
	v_add_f32_e32 v88, v88, v8
	v_sub_f32_e32 v118, v194, v158
	;; [unrolled: 3-line block ×8, first 2 shown]
	v_mul_f32_e32 v193, 0xbf7ba420, v47
	v_add_f32_e32 v88, v112, v88
	v_add_f32_e32 v112, v137, v185
	v_mul_f32_e32 v201, 0xbe8c1d8e, v51
	v_add_f32_e32 v112, v112, v9
	v_add_f32_e32 v118, v138, v193
	;; [unrolled: 3-line block ×9, first 2 shown]
	v_sub_f32_e32 v111, v184, v132
	v_mul_f32_e32 v200, 0xbe8c1d8e, v49
	v_add_f32_e32 v175, v234, v175
	v_add_f32_e32 v111, v111, v8
	v_sub_f32_e32 v118, v192, v133
	v_mul_f32_e32 v209, 0x3f6eb680, v53
	v_add_f32_e32 v175, v235, v175
	v_add_f32_e32 v111, v118, v111
	;; [unrolled: 4-line block ×3, first 2 shown]
	v_sub_f32_e32 v118, v209, v135
	v_add_f32_e32 v175, v237, v175
	v_mul_f32_e32 v237, 0xbf59a7d5, v64
	v_add_f32_e32 v111, v118, v111
	v_sub_f32_e32 v118, v218, v136
	v_mul_f32_e32 v250, 0xbf1a4643, v67
	v_add_f32_e32 v111, v118, v111
	v_sub_f32_e32 v118, v237, v139
	;; [unrolled: 3-line block ×4, first 2 shown]
	v_mul_f32_e32 v191, 0xbf1a4643, v47
	v_add_f32_e32 v111, v94, v111
	v_add_f32_e32 v94, v123, v183
	v_mul_f32_e32 v199, 0xbf7ba420, v51
	v_add_f32_e32 v94, v94, v9
	v_add_f32_e32 v118, v124, v191
	v_mul_f32_e32 v208, 0xbe8c1d8e, v55
	v_fma_f32 v242, v60, s16, -v243
	v_add_f32_e32 v94, v118, v94
	v_add_f32_e32 v118, v125, v199
	v_mul_f32_e32 v217, 0x3f3d2fb0, v62
	v_add_f32_e32 v176, v242, v176
	v_fma_f32 v243, v64, s8, -v244
	v_add_f32_e32 v94, v118, v94
	v_add_f32_e32 v118, v126, v208
	v_mul_f32_e32 v236, 0x3f6eb680, v66
	v_add_f32_e32 v176, v243, v176
	v_fma_f32 v244, v67, s10, -v245
	v_add_f32_e32 v94, v118, v94
	v_add_f32_e32 v118, v128, v217
	;; [unrolled: 1-line block ×4, first 2 shown]
	v_fma_f32 v175, v72, s9, -v246
	v_mul_f32_e32 v246, 0x3dbcf732, v71
	v_add_f32_e32 v94, v118, v94
	v_add_f32_e32 v118, v129, v236
	v_mul_f32_e32 v69, 0xbf59a7d5, v82
	v_add_f32_e32 v94, v118, v94
	v_add_f32_e32 v118, v130, v246
	;; [unrolled: 3-line block ×3, first 2 shown]
	v_mul_f32_e32 v190, 0xbf1a4643, v46
	v_add_f32_e32 v118, v69, v94
	v_sub_f32_e32 v69, v182, v113
	v_mul_f32_e32 v198, 0xbf7ba420, v49
	v_add_f32_e32 v69, v69, v8
	v_sub_f32_e32 v94, v190, v114
	;; [unrolled: 3-line block ×5, first 2 shown]
	v_add_f32_e32 v175, v175, v244
	v_mul_f32_e32 v244, 0x3dbcf732, v67
	v_add_f32_e32 v69, v94, v69
	v_sub_f32_e32 v94, v235, v119
	v_mul_f32_e32 v228, 0xbf59a7d5, v72
	v_add_f32_e32 v69, v94, v69
	v_sub_f32_e32 v94, v244, v120
	;; [unrolled: 3-line block ×3, first 2 shown]
	v_mul_f32_e32 v189, 0x3dbcf732, v47
	v_add_f32_e32 v117, v94, v69
	v_add_f32_e32 v69, v98, v181
	v_mul_f32_e32 v197, 0xbf1a4643, v51
	v_add_f32_e32 v69, v69, v9
	v_add_f32_e32 v94, v99, v189
	v_mul_f32_e32 v206, 0xbf7ba420, v55
	v_add_f32_e32 v69, v94, v69
	v_add_f32_e32 v94, v102, v197
	v_mul_f32_e32 v215, 0xbf59a7d5, v62
	v_add_f32_e32 v69, v94, v69
	v_add_f32_e32 v94, v104, v206
	v_mul_f32_e32 v234, 0xbe8c1d8e, v66
	v_add_f32_e32 v69, v94, v69
	v_add_f32_e32 v94, v107, v215
	v_mul_f32_e32 v238, 0x3ee437d1, v71
	v_add_f32_e32 v69, v94, v69
	v_add_f32_e32 v94, v108, v234
	v_add_f32_e32 v10, v10, v8
	v_mul_f32_e32 v227, 0x3f6eb680, v82
	v_add_f32_e32 v69, v94, v69
	v_add_f32_e32 v94, v109, v238
	;; [unrolled: 1-line block ×3, first 2 shown]
	v_mul_f32_e32 v148, 0x3f6eb680, v45
	v_mul_f32_e32 v156, 0x3f3d2fb0, v44
	v_add_f32_e32 v69, v94, v69
	v_add_f32_e32 v94, v110, v227
	;; [unrolled: 1-line block ×3, first 2 shown]
	v_mul_f32_e32 v152, 0x3f3d2fb0, v47
	v_mul_f32_e32 v188, 0x3dbcf732, v46
	v_add_f32_e32 v94, v94, v69
	v_sub_f32_e32 v69, v156, v92
	v_add_f32_e32 v50, v50, v148
	v_add_f32_e32 v11, v11, v9
	v_add_f32_e32 v10, v20, v10
	v_mul_f32_e32 v155, 0x3ee437d1, v51
	v_mul_f32_e32 v196, 0xbf1a4643, v49
	v_add_f32_e32 v69, v69, v8
	v_sub_f32_e32 v92, v188, v93
	v_add_f32_e32 v50, v50, v9
	v_add_f32_e32 v54, v54, v152
	v_add_f32_e32 v11, v17, v11
	v_add_f32_e32 v10, v22, v10
	v_mul_f32_e32 v204, 0x3dbcf732, v55
	v_mul_f32_e32 v205, 0xbf7ba420, v53
	v_add_f32_e32 v69, v92, v69
	v_sub_f32_e32 v92, v196, v95
	v_add_f32_e32 v50, v54, v50
	;; [unrolled: 8-line block ×5, first 2 shown]
	v_add_f32_e32 v54, v75, v249
	v_add_f32_e32 v11, v29, v11
	;; [unrolled: 1-line block ×3, first 2 shown]
	v_mul_f32_e32 v140, 0x3f6eb680, v44
	v_mul_f32_e32 v225, 0xbf7ba420, v82
	;; [unrolled: 1-line block ×3, first 2 shown]
	v_add_f32_e32 v69, v92, v69
	v_sub_f32_e32 v92, v245, v103
	v_add_f32_e32 v50, v54, v50
	v_add_f32_e32 v54, v85, v243
	;; [unrolled: 1-line block ×4, first 2 shown]
	v_fma_f32 v12, v45, s16, -v74
	v_mul_f32_e32 v145, 0x3f3d2fb0, v46
	v_add_f32_e32 v69, v92, v69
	v_sub_f32_e32 v92, v226, v105
	v_add_f32_e32 v50, v54, v50
	v_add_f32_e32 v54, v90, v225
	v_sub_f32_e32 v48, v140, v48
	v_add_f32_e32 v11, v33, v11
	v_add_f32_e32 v9, v12, v9
	v_fma_f32 v12, v47, s10, -v84
	v_mul_f32_e32 v147, 0x3ee437d1, v49
	v_add_f32_e32 v93, v92, v69
	v_add_f32_e32 v69, v54, v50
	;; [unrolled: 1-line block ×3, first 2 shown]
	v_sub_f32_e32 v50, v145, v52
	v_add_f32_e32 v11, v35, v11
	v_add_f32_e32 v9, v12, v9
	v_fma_f32 v12, v51, s6, -v224
	v_fmac_f32_e32 v231, 0xbf1a4643, v44
	v_mul_f32_e32 v151, 0x3dbcf732, v53
	v_add_f32_e32 v48, v50, v48
	v_sub_f32_e32 v50, v147, v59
	v_add_f32_e32 v11, v13, v11
	v_add_f32_e32 v9, v12, v9
	v_fma_f32 v12, v55, s17, -v91
	v_add_f32_e32 v8, v231, v8
	v_fmac_f32_e32 v76, 0xbe8c1d8e, v46
	v_mul_f32_e32 v154, 0xbe8c1d8e, v60
	v_add_f32_e32 v48, v50, v48
	v_sub_f32_e32 v50, v151, v63
	v_add_f32_e32 v11, v15, v11
	v_add_f32_e32 v10, v14, v10
	v_add_f32_e32 v9, v12, v9
	v_fma_f32 v12, v62, s9, -v101
	v_add_f32_e32 v8, v76, v8
	v_fmac_f32_e32 v86, 0x3f6eb680, v49
	v_mul_f32_e32 v248, 0xbf1a4643, v64
	v_add_f32_e32 v48, v50, v48
	v_sub_f32_e32 v50, v154, v68
	v_add_f32_e32 v11, v25, v11
	;; [unrolled: 9-line block ×4, first 2 shown]
	v_add_f32_e32 v10, v36, v10
	v_add_f32_e32 v9, v12, v9
	v_fma_f32 v12, v82, s8, -v127
	v_add_f32_e32 v8, v252, v8
	v_fmac_f32_e32 v106, 0x3f3d2fb0, v64
	v_add_f32_e32 v48, v50, v48
	v_sub_f32_e32 v50, v223, v87
	v_add_f32_e32 v11, v39, v11
	v_add_f32_e32 v10, v38, v10
	;; [unrolled: 1-line block ×4, first 2 shown]
	v_fmac_f32_e32 v253, 0xbf7ba420, v67
	v_mul_lo_u16_e32 v12, 17, v77
	v_add_f32_e32 v68, v50, v48
	v_add_f32_e32 v11, v41, v11
	;; [unrolled: 1-line block ×4, first 2 shown]
	v_fmac_f32_e32 v122, 0x3ee437d1, v72
	v_add_lshl_u32 v12, v80, v12, 3
	v_add_f32_e32 v8, v122, v8
	ds_write2_b64 v12, v[10:11], v[68:69] offset1:1
	ds_write2_b64 v12, v[93:94], v[117:118] offset0:2 offset1:3
	ds_write2_b64 v12, v[111:112], v[88:89] offset0:4 offset1:5
	;; [unrolled: 1-line block ×7, first 2 shown]
	ds_write_b64 v12, v[57:58] offset:128
.LBB0_7:
	s_or_b64 exec, exec, s[4:5]
	s_load_dwordx4 s[4:7], s[0:1], 0x0
	v_mad_u64_u32 v[40:41], s[0:1], v77, 24, s[2:3]
	v_add_co_u32_e64 v42, s[0:1], 34, v77
	s_movk_i32 s0, 0xf1
	v_mul_lo_u16_sdwa v12, v42, s0 dst_sel:DWORD dst_unused:UNUSED_PAD src0_sel:BYTE_0 src1_sel:DWORD
	v_lshrrev_b16_e32 v12, 12, v12
	v_mul_lo_u16_e32 v12, 17, v12
	v_sub_u16_e32 v12, v42, v12
	s_waitcnt lgkmcnt(0)
	s_barrier
	global_load_dwordx4 v[8:11], v[40:41], off
	global_load_dwordx2 v[59:60], v[40:41], off offset:16
	v_and_b32_e32 v43, 0xff, v12
	v_mad_u64_u32 v[16:17], s[0:1], v43, 24, s[2:3]
	global_load_dwordx4 v[12:15], v[16:17], off
	global_load_dwordx2 v[61:62], v[16:17], off offset:16
	v_add_lshl_u32 v82, v80, v77, 3
	ds_read2_b64 v[16:19], v82 offset1:17
	ds_read2_b64 v[20:23], v82 offset0:34 offset1:51
	ds_read2_b64 v[24:27], v82 offset0:102 offset1:119
	;; [unrolled: 1-line block ×5, first 2 shown]
	s_waitcnt vmcnt(0) lgkmcnt(0)
	s_barrier
	v_add_lshl_u32 v83, v80, v43, 3
	v_mul_f32_e32 v44, v23, v9
	v_mul_f32_e32 v45, v22, v9
	;; [unrolled: 1-line block ×12, first 2 shown]
	v_fma_f32 v22, v22, v8, -v44
	v_fmac_f32_e32 v45, v23, v8
	v_fma_f32 v23, v24, v10, -v46
	v_fmac_f32_e32 v47, v25, v10
	;; [unrolled: 2-line block ×6, first 2 shown]
	v_sub_f32_e32 v30, v16, v23
	v_sub_f32_e32 v31, v17, v47
	v_sub_f32_e32 v23, v22, v24
	v_sub_f32_e32 v24, v45, v49
	v_sub_f32_e32 v36, v18, v26
	v_sub_f32_e32 v37, v19, v53
	v_sub_f32_e32 v44, v25, v27
	v_sub_f32_e32 v26, v51, v55
	v_fma_f32 v32, v16, 2.0, -v30
	v_fma_f32 v33, v17, 2.0, -v31
	;; [unrolled: 1-line block ×8, first 2 shown]
	v_sub_f32_e32 v16, v30, v24
	v_add_f32_e32 v17, v31, v23
	v_sub_f32_e32 v18, v36, v26
	v_sub_f32_e32 v22, v32, v22
	;; [unrolled: 1-line block ×5, first 2 shown]
	v_fma_f32 v24, v30, 2.0, -v16
	v_fma_f32 v25, v31, 2.0, -v17
	v_fma_f32 v30, v32, 2.0, -v22
	v_fma_f32 v31, v33, 2.0, -v23
	v_fma_f32 v32, v45, 2.0, -v26
	v_fma_f32 v33, v19, 2.0, -v27
	v_mul_f32_e32 v19, v35, v13
	v_mul_f32_e32 v45, v34, v13
	;; [unrolled: 1-line block ×6, first 2 shown]
	v_fma_f32 v34, v34, v12, -v19
	v_fmac_f32_e32 v45, v35, v12
	v_fma_f32 v35, v28, v14, -v46
	v_fmac_f32_e32 v47, v29, v14
	;; [unrolled: 2-line block ×3, first 2 shown]
	v_add_f32_e32 v19, v37, v44
	v_fma_f32 v29, v37, 2.0, -v19
	v_sub_f32_e32 v39, v20, v35
	v_sub_f32_e32 v44, v21, v47
	;; [unrolled: 1-line block ×4, first 2 shown]
	v_fma_f32 v28, v36, 2.0, -v18
	v_fma_f32 v35, v20, 2.0, -v39
	;; [unrolled: 1-line block ×5, first 2 shown]
	v_sub_f32_e32 v20, v35, v20
	v_sub_f32_e32 v21, v36, v21
	v_fma_f32 v34, v35, 2.0, -v20
	v_fma_f32 v35, v36, 2.0, -v21
	v_sub_f32_e32 v36, v39, v38
	v_add_f32_e32 v37, v44, v37
	ds_write2_b64 v82, v[30:31], v[24:25] offset1:17
	ds_write2_b64 v82, v[22:23], v[16:17] offset0:34 offset1:51
	ds_write2_b64 v82, v[32:33], v[28:29] offset0:68 offset1:85
	;; [unrolled: 1-line block ×3, first 2 shown]
	v_sub_co_u32_e64 v16, s[0:1], v40, v78
	v_fma_f32 v38, v39, 2.0, -v36
	v_fma_f32 v39, v44, 2.0, -v37
	v_subbrev_co_u32_e64 v17, s[0:1], 0, v41, s[0:1]
	ds_write2_b64 v83, v[34:35], v[38:39] offset0:136 offset1:153
	ds_write2_b64 v83, v[20:21], v[36:37] offset0:170 offset1:187
	s_waitcnt lgkmcnt(0)
	s_barrier
	global_load_dwordx4 v[16:19], v[16:17], off offset:408
	v_lshlrev_b32_e32 v28, 4, v77
	v_add_u32_e32 v20, 0x110, v28
	global_load_dwordx4 v[20:23], v20, s[2:3] offset:408
	v_lshlrev_b32_e32 v24, 4, v42
	global_load_dwordx4 v[24:27], v24, s[2:3] offset:408
	v_add_u32_e32 v28, 0x330, v28
	global_load_dwordx4 v[28:31], v28, s[2:3] offset:408
	ds_read2_b64 v[36:39], v82 offset1:17
	ds_read2_b64 v[32:35], v82 offset0:68 offset1:85
	ds_read2_b64 v[44:47], v82 offset0:136 offset1:153
	;; [unrolled: 1-line block ×5, first 2 shown]
	s_waitcnt vmcnt(3) lgkmcnt(4)
	v_mul_f32_e32 v63, v33, v17
	s_waitcnt lgkmcnt(3)
	v_mul_f32_e32 v65, v45, v19
	v_mul_f32_e32 v64, v32, v17
	v_fma_f32 v63, v32, v16, -v63
	v_fma_f32 v65, v44, v18, -v65
	v_mul_f32_e32 v66, v44, v19
	v_fmac_f32_e32 v64, v33, v16
	v_add_f32_e32 v33, v63, v65
	s_waitcnt vmcnt(2)
	v_mul_f32_e32 v67, v35, v21
	v_mul_f32_e32 v68, v34, v21
	v_fmac_f32_e32 v66, v45, v18
	v_fma_f32 v44, -0.5, v33, v36
	v_fma_f32 v67, v34, v20, -v67
	v_fmac_f32_e32 v68, v35, v20
	v_sub_f32_e32 v35, v64, v66
	v_mov_b32_e32 v34, v44
	v_fmac_f32_e32 v44, 0xbf5db3d7, v35
	v_fmac_f32_e32 v34, 0x3f5db3d7, v35
	v_add_f32_e32 v35, v64, v66
	v_fma_f32 v45, -0.5, v35, v37
	v_mul_f32_e32 v69, v47, v23
	v_add_f32_e32 v32, v36, v63
	v_sub_f32_e32 v36, v63, v65
	v_mov_b32_e32 v35, v45
	v_fma_f32 v69, v46, v22, -v69
	v_fmac_f32_e32 v35, 0xbf5db3d7, v36
	v_fmac_f32_e32 v45, 0x3f5db3d7, v36
	v_add_f32_e32 v36, v38, v67
	v_mul_f32_e32 v70, v46, v23
	v_add_f32_e32 v46, v36, v69
	v_add_f32_e32 v36, v67, v69
	v_fmac_f32_e32 v70, v47, v22
	v_fma_f32 v38, -0.5, v36, v38
	v_add_f32_e32 v33, v37, v64
	v_sub_f32_e32 v37, v68, v70
	v_mov_b32_e32 v36, v38
	s_waitcnt vmcnt(1) lgkmcnt(1)
	v_mul_f32_e32 v71, v49, v25
	s_waitcnt lgkmcnt(0)
	v_mul_f32_e32 v73, v53, v27
	v_fmac_f32_e32 v36, 0x3f5db3d7, v37
	v_fmac_f32_e32 v38, 0xbf5db3d7, v37
	v_add_f32_e32 v37, v39, v68
	v_mul_f32_e32 v72, v48, v25
	v_fma_f32 v71, v48, v24, -v71
	v_fma_f32 v73, v52, v26, -v73
	v_add_f32_e32 v47, v37, v70
	v_add_f32_e32 v37, v68, v70
	v_mul_f32_e32 v74, v52, v27
	v_fmac_f32_e32 v72, v49, v24
	v_fmac_f32_e32 v39, -0.5, v37
	v_add_f32_e32 v49, v71, v73
	s_waitcnt vmcnt(0)
	v_mul_f32_e32 v75, v51, v29
	v_fmac_f32_e32 v74, v53, v26
	v_sub_f32_e32 v48, v67, v69
	v_mov_b32_e32 v37, v39
	v_fma_f32 v52, -0.5, v49, v40
	v_mul_f32_e32 v76, v50, v29
	v_fma_f32 v75, v50, v28, -v75
	v_fmac_f32_e32 v37, 0xbf5db3d7, v48
	v_fmac_f32_e32 v39, 0x3f5db3d7, v48
	v_add_f32_e32 v48, v40, v71
	v_sub_f32_e32 v40, v72, v74
	v_mov_b32_e32 v50, v52
	v_fmac_f32_e32 v50, 0x3f5db3d7, v40
	v_fmac_f32_e32 v52, 0xbf5db3d7, v40
	v_add_f32_e32 v40, v41, v72
	v_add_f32_e32 v49, v40, v74
	;; [unrolled: 1-line block ×3, first 2 shown]
	v_fma_f32 v53, -0.5, v40, v41
	v_mul_f32_e32 v84, v55, v31
	v_fmac_f32_e32 v76, v51, v28
	v_sub_f32_e32 v40, v71, v73
	v_mov_b32_e32 v51, v53
	v_fma_f32 v84, v54, v30, -v84
	v_fmac_f32_e32 v51, 0xbf5db3d7, v40
	v_fmac_f32_e32 v53, 0x3f5db3d7, v40
	v_add_f32_e32 v40, v42, v75
	v_mul_f32_e32 v85, v54, v31
	v_add_f32_e32 v54, v40, v84
	v_add_f32_e32 v40, v75, v84
	v_fmac_f32_e32 v85, v55, v30
	v_fma_f32 v42, -0.5, v40, v42
	v_sub_f32_e32 v41, v76, v85
	v_mov_b32_e32 v40, v42
	v_fmac_f32_e32 v40, 0x3f5db3d7, v41
	v_fmac_f32_e32 v42, 0xbf5db3d7, v41
	v_add_f32_e32 v41, v43, v76
	v_add_f32_e32 v55, v41, v85
	;; [unrolled: 1-line block ×3, first 2 shown]
	v_fmac_f32_e32 v43, -0.5, v41
	v_sub_f32_e32 v63, v75, v84
	v_mov_b32_e32 v41, v43
	v_add_f32_e32 v32, v32, v65
	v_add_f32_e32 v33, v33, v66
	;; [unrolled: 1-line block ×3, first 2 shown]
	v_fmac_f32_e32 v41, 0xbf5db3d7, v63
	v_fmac_f32_e32 v43, 0x3f5db3d7, v63
	v_lshl_add_u32 v84, v77, 3, v81
	v_add_u32_e32 v63, v78, v81
	ds_write2_b64 v84, v[32:33], v[46:47] offset1:17
	ds_write2_b64 v84, v[34:35], v[36:37] offset0:68 offset1:85
	ds_write2_b64 v84, v[44:45], v[38:39] offset0:136 offset1:153
	ds_write_b64 v84, v[48:49] offset:272
	ds_write_b64 v63, v[50:51] offset:816
	;; [unrolled: 1-line block ×6, first 2 shown]
	s_waitcnt lgkmcnt(0)
	s_barrier
	s_and_saveexec_b64 s[0:1], vcc
	s_cbranch_execz .LBB0_9
; %bb.8:
	global_load_dwordx2 v[101:102], v78, s[12:13] offset:1632
	s_add_u32 s2, s12, 0x660
	s_addc_u32 s3, s13, 0
	global_load_dwordx2 v[103:104], v78, s[2:3] offset:96
	global_load_dwordx2 v[105:106], v78, s[2:3] offset:192
	global_load_dwordx2 v[107:108], v78, s[2:3] offset:288
	global_load_dwordx2 v[109:110], v78, s[2:3] offset:384
	global_load_dwordx2 v[111:112], v78, s[2:3] offset:480
	global_load_dwordx2 v[113:114], v78, s[2:3] offset:576
	global_load_dwordx2 v[115:116], v78, s[2:3] offset:672
	global_load_dwordx2 v[117:118], v78, s[2:3] offset:768
	global_load_dwordx2 v[119:120], v78, s[2:3] offset:864
	global_load_dwordx2 v[121:122], v78, s[2:3] offset:960
	global_load_dwordx2 v[123:124], v78, s[2:3] offset:1056
	global_load_dwordx2 v[125:126], v78, s[2:3] offset:1152
	global_load_dwordx2 v[127:128], v78, s[2:3] offset:1248
	global_load_dwordx2 v[129:130], v78, s[2:3] offset:1344
	global_load_dwordx2 v[131:132], v78, s[2:3] offset:1440
	ds_read2_b64 v[64:67], v84 offset1:12
	ds_read2_b64 v[68:71], v84 offset0:24 offset1:36
	global_load_dwordx2 v[133:134], v78, s[2:3] offset:1536
	ds_read2_b64 v[72:75], v84 offset0:48 offset1:60
	ds_read2_b64 v[85:88], v84 offset0:72 offset1:84
	;; [unrolled: 1-line block ×5, first 2 shown]
	s_waitcnt vmcnt(13) lgkmcnt(5)
	v_mul_f32_e32 v137, v71, v108
	s_waitcnt vmcnt(12) lgkmcnt(4)
	v_mul_f32_e32 v138, v73, v110
	s_waitcnt vmcnt(11)
	v_mul_f32_e32 v139, v75, v112
	s_waitcnt vmcnt(10) lgkmcnt(3)
	v_mul_f32_e32 v140, v86, v114
	s_waitcnt vmcnt(9)
	;; [unrolled: 4-line block ×3, first 2 shown]
	v_mul_f32_e32 v143, v92, v120
	s_waitcnt vmcnt(6) lgkmcnt(1)
	v_mul_f32_e32 v144, v94, v122
	v_mul_f32_e32 v76, v65, v102
	;; [unrolled: 1-line block ×3, first 2 shown]
	v_fma_f32 v135, v64, v101, -v76
	v_fmac_f32_e32 v136, v65, v101
	v_mul_f32_e32 v64, v67, v104
	v_mul_f32_e32 v65, v66, v104
	v_mul_f32_e32 v101, v69, v106
	v_mul_f32_e32 v102, v68, v106
	v_mul_f32_e32 v104, v70, v108
	v_mul_f32_e32 v106, v72, v110
	v_mul_f32_e32 v108, v74, v112
	v_mul_f32_e32 v76, v85, v114
	v_mul_f32_e32 v110, v87, v116
	v_mul_f32_e32 v112, v89, v118
	v_mul_f32_e32 v114, v91, v120
	v_mul_f32_e32 v116, v93, v122
	s_waitcnt vmcnt(5)
	v_mul_f32_e32 v122, v96, v124
	v_mul_f32_e32 v118, v95, v124
	v_fma_f32 v64, v66, v103, -v64
	v_fmac_f32_e32 v65, v67, v103
	v_fma_f32 v101, v68, v105, -v101
	v_fmac_f32_e32 v102, v69, v105
	;; [unrolled: 2-line block ×11, first 2 shown]
	ds_write2_b64 v84, v[135:136], v[64:65] offset1:12
	ds_write2_b64 v84, v[101:102], v[103:104] offset0:24 offset1:36
	ds_write2_b64 v84, v[105:106], v[107:108] offset0:48 offset1:60
	;; [unrolled: 1-line block ×5, first 2 shown]
	ds_read2_b64 v[64:67], v84 offset0:168 offset1:180
	s_waitcnt vmcnt(4) lgkmcnt(7)
	v_mul_f32_e32 v124, v98, v126
	v_mul_f32_e32 v120, v97, v126
	s_waitcnt vmcnt(3)
	v_mul_f32_e32 v126, v100, v128
	v_mul_f32_e32 v69, v99, v128
	v_fma_f32 v119, v97, v125, -v124
	v_fmac_f32_e32 v120, v98, v125
	v_fma_f32 v68, v99, v127, -v126
	v_fmac_f32_e32 v69, v100, v127
	ds_write2_b64 v84, v[119:120], v[68:69] offset0:144 offset1:156
	s_waitcnt vmcnt(2) lgkmcnt(1)
	v_mul_f32_e32 v68, v65, v130
	v_mul_f32_e32 v69, v64, v130
	v_fma_f32 v68, v64, v129, -v68
	v_fmac_f32_e32 v69, v65, v129
	ds_read_b64 v[64:65], v84 offset:1536
	s_waitcnt vmcnt(1)
	v_mul_f32_e32 v70, v67, v132
	v_mul_f32_e32 v71, v66, v132
	v_fma_f32 v70, v66, v131, -v70
	v_fmac_f32_e32 v71, v67, v131
	s_waitcnt vmcnt(0) lgkmcnt(0)
	v_mul_f32_e32 v66, v65, v134
	v_mul_f32_e32 v67, v64, v134
	v_fma_f32 v66, v64, v133, -v66
	v_fmac_f32_e32 v67, v65, v133
	ds_write2_b64 v84, v[68:69], v[70:71] offset0:168 offset1:180
	ds_write_b64 v84, v[66:67] offset:1536
.LBB0_9:
	s_or_b64 exec, exec, s[0:1]
	s_waitcnt lgkmcnt(0)
	s_barrier
	s_and_saveexec_b64 s[0:1], vcc
	s_cbranch_execz .LBB0_11
; %bb.10:
	ds_read2_b64 v[32:35], v84 offset1:12
	ds_read2_b64 v[44:47], v84 offset0:24 offset1:36
	ds_read2_b64 v[36:39], v84 offset0:48 offset1:60
	;; [unrolled: 1-line block ×7, first 2 shown]
	ds_read_b64 v[57:58], v84 offset:1536
.LBB0_11:
	s_or_b64 exec, exec, s[0:1]
	v_add_u32_e32 v86, 0x110, v63
	v_add_u32_e32 v85, 0x198, v63
	s_waitcnt lgkmcnt(0)
	s_barrier
	s_and_saveexec_b64 s[0:1], vcc
	s_cbranch_execz .LBB0_13
; %bb.12:
	v_sub_f32_e32 v87, v34, v57
	v_mul_f32_e32 v69, 0xbf06c442, v87
	v_sub_f32_e32 v88, v44, v2
	v_add_f32_e32 v103, v58, v35
	v_mov_b32_e32 v63, v69
	v_mul_f32_e32 v70, 0x3f65296c, v88
	v_fmac_f32_e32 v63, 0xbf59a7d5, v103
	v_add_f32_e32 v104, v3, v45
	v_mov_b32_e32 v64, v70
	v_sub_f32_e32 v89, v46, v0
	v_add_f32_e32 v63, v33, v63
	v_fmac_f32_e32 v64, 0x3ee437d1, v104
	v_mul_f32_e32 v71, 0xbf7ee86f, v89
	v_add_f32_e32 v63, v64, v63
	v_add_f32_e32 v105, v1, v47
	v_mov_b32_e32 v64, v71
	v_sub_f32_e32 v90, v36, v6
	v_fmac_f32_e32 v64, 0x3dbcf732, v105
	v_mul_f32_e32 v72, 0x3f4c4adb, v90
	v_add_f32_e32 v63, v64, v63
	v_add_f32_e32 v106, v7, v37
	v_mov_b32_e32 v64, v72
	v_sub_f32_e32 v91, v38, v4
	;; [unrolled: 6-line block ×3, first 2 shown]
	s_mov_b32 s2, 0xbf59a7d5
	v_fmac_f32_e32 v64, 0x3f6eb680, v107
	v_mul_f32_e32 v74, 0xbe3c28d5, v92
	s_mov_b32 s3, 0x3ee437d1
	v_add_f32_e32 v63, v64, v63
	v_add_f32_e32 v108, v43, v49
	v_mov_b32_e32 v64, v74
	v_sub_f32_e32 v93, v50, v40
	v_fma_f32 v69, v103, s2, -v69
	s_mov_b32 s8, 0x3dbcf732
	v_fmac_f32_e32 v64, 0xbf7ba420, v108
	v_mul_f32_e32 v75, 0x3f2c7751, v93
	v_add_f32_e32 v69, v33, v69
	v_fma_f32 v70, v104, s3, -v70
	s_mov_b32 s9, 0xbf1a4643
	v_add_f32_e32 v63, v64, v63
	v_add_f32_e32 v109, v41, v51
	v_mov_b32_e32 v64, v75
	v_sub_f32_e32 v94, v52, v54
	v_add_f32_e32 v69, v70, v69
	v_fma_f32 v70, v105, s8, -v71
	s_mov_b32 s11, 0x3f6eb680
	v_fmac_f32_e32 v64, 0x3f3d2fb0, v109
	v_mul_f32_e32 v76, 0xbf763a35, v94
	v_add_f32_e32 v69, v70, v69
	v_fma_f32 v70, v106, s9, -v72
	s_mov_b32 s10, 0xbf7ba420
	v_add_f32_e32 v63, v64, v63
	v_add_f32_e32 v110, v55, v53
	v_mov_b32_e32 v64, v76
	v_sub_f32_e32 v111, v35, v58
	v_add_f32_e32 v69, v70, v69
	v_fma_f32 v70, v107, s11, -v73
	s_mov_b32 s16, 0x3f3d2fb0
	v_fmac_f32_e32 v64, 0xbe8c1d8e, v110
	v_add_f32_e32 v95, v57, v34
	v_mul_f32_e32 v119, 0xbf06c442, v111
	v_sub_f32_e32 v112, v45, v3
	v_add_f32_e32 v69, v70, v69
	v_fma_f32 v70, v108, s10, -v74
	s_mov_b32 s17, 0xbe8c1d8e
	v_add_f32_e32 v64, v64, v63
	v_fma_f32 v63, v95, s2, -v119
	v_add_f32_e32 v96, v2, v44
	v_mul_f32_e32 v120, 0x3f65296c, v112
	v_sub_f32_e32 v113, v47, v1
	v_add_f32_e32 v69, v70, v69
	v_fma_f32 v70, v109, s16, -v75
	v_add_f32_e32 v63, v32, v63
	v_fma_f32 v65, v96, s3, -v120
	v_add_f32_e32 v97, v0, v46
	v_mul_f32_e32 v121, 0xbf7ee86f, v113
	v_sub_f32_e32 v114, v37, v7
	v_add_f32_e32 v69, v70, v69
	v_fma_f32 v70, v110, s17, -v76
	v_fmac_f32_e32 v119, 0xbf59a7d5, v95
	v_add_f32_e32 v63, v65, v63
	v_fma_f32 v65, v97, s8, -v121
	v_add_f32_e32 v98, v6, v36
	v_mul_f32_e32 v122, 0x3f4c4adb, v114
	v_sub_f32_e32 v115, v39, v5
	v_add_f32_e32 v70, v70, v69
	v_add_f32_e32 v69, v32, v119
	v_fmac_f32_e32 v120, 0x3ee437d1, v96
	v_add_f32_e32 v63, v65, v63
	v_fma_f32 v65, v98, s9, -v122
	v_add_f32_e32 v99, v4, v38
	v_mul_f32_e32 v123, 0xbeb8f4ab, v115
	v_sub_f32_e32 v116, v49, v43
	v_add_f32_e32 v69, v120, v69
	v_fmac_f32_e32 v121, 0x3dbcf732, v97
	v_add_f32_e32 v63, v65, v63
	v_fma_f32 v65, v99, s11, -v123
	v_add_f32_e32 v100, v42, v48
	v_mul_f32_e32 v124, 0xbe3c28d5, v116
	v_sub_f32_e32 v117, v51, v41
	;; [unrolled: 7-line block ×3, first 2 shown]
	v_add_f32_e32 v69, v122, v69
	v_fmac_f32_e32 v123, 0x3f6eb680, v99
	v_add_f32_e32 v63, v65, v63
	v_fma_f32 v65, v101, s16, -v125
	v_add_f32_e32 v102, v54, v52
	v_mul_f32_e32 v126, 0xbf763a35, v118
	v_add_f32_e32 v69, v123, v69
	v_fmac_f32_e32 v124, 0xbf7ba420, v100
	v_mul_f32_e32 v123, 0xbf1a4643, v103
	v_add_f32_e32 v63, v65, v63
	v_fma_f32 v65, v102, s17, -v126
	v_mul_f32_e32 v67, 0xbe3c28d5, v87
	v_add_f32_e32 v69, v124, v69
	v_mov_b32_e32 v71, v123
	v_mul_f32_e32 v124, 0xbe8c1d8e, v104
	v_add_f32_e32 v63, v65, v63
	v_mov_b32_e32 v65, v67
	v_mul_f32_e32 v68, 0x3eb8f4ab, v88
	v_fmac_f32_e32 v125, 0x3f3d2fb0, v101
	v_fmac_f32_e32 v71, 0x3f4c4adb, v87
	v_mov_b32_e32 v72, v124
	v_fmac_f32_e32 v65, 0xbf7ba420, v103
	v_mov_b32_e32 v66, v68
	v_add_f32_e32 v69, v125, v69
	v_add_f32_e32 v71, v33, v71
	v_fmac_f32_e32 v72, 0xbf763a35, v88
	v_mul_f32_e32 v125, 0x3f6eb680, v105
	v_add_f32_e32 v65, v33, v65
	v_fmac_f32_e32 v66, 0x3f6eb680, v104
	v_mul_f32_e32 v127, 0xbf06c442, v89
	v_fmac_f32_e32 v126, 0xbe8c1d8e, v102
	v_add_f32_e32 v71, v72, v71
	v_mov_b32_e32 v72, v125
	v_add_f32_e32 v65, v66, v65
	v_mov_b32_e32 v66, v127
	v_fma_f32 v67, v103, s10, -v67
	v_add_f32_e32 v69, v126, v69
	v_fmac_f32_e32 v72, 0x3eb8f4ab, v89
	v_mul_f32_e32 v126, 0xbf59a7d5, v106
	v_fmac_f32_e32 v66, 0xbf59a7d5, v105
	v_mul_f32_e32 v128, 0x3f2c7751, v90
	v_add_f32_e32 v67, v33, v67
	v_fma_f32 v68, v104, s11, -v68
	v_add_f32_e32 v71, v72, v71
	v_mov_b32_e32 v72, v126
	v_add_f32_e32 v65, v66, v65
	v_mov_b32_e32 v66, v128
	v_add_f32_e32 v67, v68, v67
	v_fma_f32 v68, v105, s2, -v127
	v_fmac_f32_e32 v72, 0x3f06c442, v90
	v_mul_f32_e32 v127, 0x3dbcf732, v107
	v_fmac_f32_e32 v66, 0x3f3d2fb0, v106
	v_mul_f32_e32 v129, 0xbf4c4adb, v91
	v_add_f32_e32 v71, v72, v71
	v_mov_b32_e32 v72, v127
	v_add_f32_e32 v65, v66, v65
	v_mov_b32_e32 v66, v129
	v_add_f32_e32 v67, v68, v67
	v_fma_f32 v68, v106, s16, -v128
	v_fmac_f32_e32 v72, 0xbf7ee86f, v91
	v_mul_f32_e32 v128, 0x3f3d2fb0, v108
	v_fmac_f32_e32 v66, 0xbf1a4643, v107
	v_mul_f32_e32 v130, 0x3f65296c, v92
	;; [unrolled: 10-line block ×5, first 2 shown]
	v_add_f32_e32 v67, v68, v67
	v_fma_f32 v68, v110, s8, -v132
	v_add_f32_e32 v72, v72, v71
	v_mov_b32_e32 v71, v131
	v_mul_f32_e32 v132, 0x3f763a35, v112
	v_add_f32_e32 v66, v66, v65
	v_fma_f32 v65, v95, s10, -v133
	v_mul_f32_e32 v134, 0x3eb8f4ab, v112
	v_fmac_f32_e32 v133, 0xbf7ba420, v95
	v_fmac_f32_e32 v71, 0xbf1a4643, v95
	v_mov_b32_e32 v73, v132
	v_add_f32_e32 v65, v32, v65
	v_fma_f32 v135, v96, s11, -v134
	v_add_f32_e32 v68, v68, v67
	v_add_f32_e32 v67, v32, v133
	;; [unrolled: 1-line block ×3, first 2 shown]
	v_fmac_f32_e32 v73, 0xbe8c1d8e, v96
	v_mul_f32_e32 v133, 0xbeb8f4ab, v113
	v_add_f32_e32 v65, v135, v65
	v_mul_f32_e32 v135, 0xbf06c442, v113
	v_fmac_f32_e32 v134, 0x3f6eb680, v96
	v_add_f32_e32 v71, v73, v71
	v_mov_b32_e32 v73, v133
	v_fma_f32 v136, v97, s2, -v135
	v_add_f32_e32 v67, v134, v67
	v_fmac_f32_e32 v73, 0x3f6eb680, v97
	v_mul_f32_e32 v134, 0xbf06c442, v114
	v_add_f32_e32 v65, v136, v65
	v_mul_f32_e32 v136, 0x3f2c7751, v114
	v_fmac_f32_e32 v135, 0xbf59a7d5, v97
	v_add_f32_e32 v71, v73, v71
	v_mov_b32_e32 v73, v134
	v_fma_f32 v137, v98, s16, -v136
	v_add_f32_e32 v67, v135, v67
	;; [unrolled: 9-line block ×6, first 2 shown]
	v_fmac_f32_e32 v140, 0x3dbcf732, v102
	v_fmac_f32_e32 v73, 0x3ee437d1, v102
	v_mul_f32_e32 v139, 0xbe8c1d8e, v103
	v_add_f32_e32 v67, v140, v67
	v_add_f32_e32 v71, v73, v71
	v_mov_b32_e32 v73, v139
	v_mul_f32_e32 v140, 0xbf59a7d5, v104
	v_fmac_f32_e32 v73, 0x3f763a35, v87
	v_mov_b32_e32 v74, v140
	v_add_f32_e32 v65, v141, v65
	v_add_f32_e32 v73, v33, v73
	v_fmac_f32_e32 v74, 0xbf06c442, v88
	v_mul_f32_e32 v141, 0x3f3d2fb0, v105
	v_add_f32_e32 v73, v74, v73
	v_mov_b32_e32 v74, v141
	v_fmac_f32_e32 v74, 0xbf2c7751, v89
	v_mul_f32_e32 v142, 0x3ee437d1, v106
	v_add_f32_e32 v73, v74, v73
	v_mov_b32_e32 v74, v142
	;; [unrolled: 4-line block ×7, first 2 shown]
	v_mul_f32_e32 v148, 0x3f06c442, v112
	v_fmac_f32_e32 v73, 0xbe8c1d8e, v95
	v_mov_b32_e32 v75, v148
	v_add_f32_e32 v73, v32, v73
	v_fmac_f32_e32 v75, 0xbf59a7d5, v96
	v_mul_f32_e32 v149, 0x3f2c7751, v113
	v_add_f32_e32 v73, v75, v73
	v_mov_b32_e32 v75, v149
	v_fmac_f32_e32 v75, 0x3f3d2fb0, v97
	v_mul_f32_e32 v150, 0xbf65296c, v114
	v_add_f32_e32 v73, v75, v73
	v_mov_b32_e32 v75, v150
	;; [unrolled: 4-line block ×7, first 2 shown]
	v_mul_f32_e32 v156, 0xbf7ba420, v104
	v_fmac_f32_e32 v75, 0x3f7ee86f, v87
	v_mov_b32_e32 v76, v156
	v_add_f32_e32 v75, v33, v75
	v_fmac_f32_e32 v76, 0x3e3c28d5, v88
	v_mul_f32_e32 v157, 0xbe8c1d8e, v105
	v_add_f32_e32 v75, v76, v75
	v_mov_b32_e32 v76, v157
	v_fmac_f32_e32 v76, 0xbf763a35, v89
	v_mul_f32_e32 v158, 0x3f6eb680, v106
	v_add_f32_e32 v75, v76, v75
	v_mov_b32_e32 v76, v158
	;; [unrolled: 4-line block ×7, first 2 shown]
	v_mul_f32_e32 v164, 0xbe3c28d5, v112
	v_add_f32_e32 v35, v35, v33
	v_fmac_f32_e32 v75, 0x3dbcf732, v95
	v_mov_b32_e32 v119, v164
	v_add_f32_e32 v35, v45, v35
	v_add_f32_e32 v75, v32, v75
	v_fmac_f32_e32 v119, 0xbf7ba420, v96
	v_mul_f32_e32 v165, 0x3f763a35, v113
	v_add_f32_e32 v35, v47, v35
	v_add_f32_e32 v75, v119, v75
	v_mov_b32_e32 v119, v165
	v_add_f32_e32 v35, v37, v35
	v_fmac_f32_e32 v119, 0xbe8c1d8e, v97
	v_mul_f32_e32 v166, 0x3eb8f4ab, v114
	v_add_f32_e32 v35, v39, v35
	v_add_f32_e32 v75, v119, v75
	v_mov_b32_e32 v119, v166
	;; [unrolled: 6-line block ×6, first 2 shown]
	v_add_f32_e32 v1, v1, v5
	v_fmac_f32_e32 v119, 0x3f3d2fb0, v102
	v_mul_f32_e32 v171, 0x3ee437d1, v103
	v_add_f32_e32 v1, v3, v1
	v_add_f32_e32 v3, v34, v32
	v_add_f32_e32 v75, v119, v75
	v_mov_b32_e32 v119, v171
	v_mul_f32_e32 v172, 0xbf1a4643, v104
	v_add_f32_e32 v3, v44, v3
	v_fmac_f32_e32 v119, 0x3f65296c, v87
	v_mov_b32_e32 v120, v172
	v_add_f32_e32 v3, v46, v3
	v_add_f32_e32 v119, v33, v119
	v_fmac_f32_e32 v120, 0x3f4c4adb, v88
	v_mul_f32_e32 v173, 0xbf7ba420, v105
	v_add_f32_e32 v3, v36, v3
	v_add_f32_e32 v119, v120, v119
	v_mov_b32_e32 v120, v173
	v_add_f32_e32 v3, v38, v3
	v_fmac_f32_e32 v120, 0xbe3c28d5, v89
	v_mul_f32_e32 v174, 0xbe8c1d8e, v106
	v_add_f32_e32 v3, v48, v3
	v_add_f32_e32 v119, v120, v119
	v_mov_b32_e32 v120, v174
	;; [unrolled: 6-line block ×5, first 2 shown]
	v_add_f32_e32 v3, v6, v3
	v_fmac_f32_e32 v120, 0x3f7ee86f, v93
	v_mul_f32_e32 v178, 0xbf59a7d5, v110
	v_add_f32_e32 v0, v0, v3
	v_fmac_f32_e32 v123, 0xbf4c4adb, v87
	v_add_f32_e32 v119, v120, v119
	v_mov_b32_e32 v120, v178
	v_add_f32_e32 v0, v2, v0
	v_add_f32_e32 v2, v33, v123
	v_fmac_f32_e32 v124, 0x3f763a35, v88
	v_fmac_f32_e32 v120, 0x3f06c442, v94
	v_mul_f32_e32 v179, 0xbf65296c, v111
	v_add_f32_e32 v2, v124, v2
	v_fmac_f32_e32 v125, 0xbeb8f4ab, v89
	v_add_f32_e32 v120, v120, v119
	v_mov_b32_e32 v119, v179
	v_mul_f32_e32 v180, 0xbf4c4adb, v112
	v_add_f32_e32 v2, v125, v2
	v_fmac_f32_e32 v126, 0xbf06c442, v90
	v_fmac_f32_e32 v119, 0x3ee437d1, v95
	v_mov_b32_e32 v121, v180
	v_add_f32_e32 v2, v126, v2
	v_fmac_f32_e32 v127, 0x3f7ee86f, v91
	v_add_f32_e32 v119, v32, v119
	v_fmac_f32_e32 v121, 0xbf1a4643, v96
	v_mul_f32_e32 v181, 0x3e3c28d5, v113
	v_add_f32_e32 v2, v127, v2
	v_fmac_f32_e32 v128, 0xbf2c7751, v92
	v_add_f32_e32 v119, v121, v119
	v_mov_b32_e32 v121, v181
	v_add_f32_e32 v2, v128, v2
	v_fmac_f32_e32 v129, 0xbe3c28d5, v93
	v_fmac_f32_e32 v121, 0xbf7ba420, v97
	v_mul_f32_e32 v182, 0x3f763a35, v114
	v_add_f32_e32 v2, v129, v2
	v_fmac_f32_e32 v130, 0x3f65296c, v94
	v_add_f32_e32 v119, v121, v119
	v_mov_b32_e32 v121, v182
	v_add_f32_e32 v3, v130, v2
	v_fma_f32 v2, v95, s9, -v131
	v_fmac_f32_e32 v121, 0xbe8c1d8e, v98
	v_mul_f32_e32 v183, 0x3f2c7751, v115
	v_add_f32_e32 v2, v32, v2
	v_fma_f32 v4, v96, s17, -v132
	v_add_f32_e32 v119, v121, v119
	v_mov_b32_e32 v121, v183
	v_add_f32_e32 v2, v4, v2
	v_fma_f32 v4, v97, s11, -v133
	v_fmac_f32_e32 v121, 0x3f3d2fb0, v99
	v_mul_f32_e32 v184, 0xbeb8f4ab, v116
	v_add_f32_e32 v2, v4, v2
	v_fma_f32 v4, v98, s2, -v134
	;; [unrolled: 8-line block ×4, first 2 shown]
	v_fmac_f32_e32 v139, 0xbf763a35, v87
	v_add_f32_e32 v119, v121, v119
	v_mov_b32_e32 v121, v186
	v_add_f32_e32 v2, v4, v2
	v_add_f32_e32 v4, v33, v139
	v_fmac_f32_e32 v140, 0x3f06c442, v88
	v_fmac_f32_e32 v121, 0xbf59a7d5, v102
	v_mul_f32_e32 v187, 0x3f3d2fb0, v103
	v_add_f32_e32 v4, v140, v4
	v_fmac_f32_e32 v141, 0x3f2c7751, v89
	v_add_f32_e32 v119, v121, v119
	v_mov_b32_e32 v121, v187
	v_mul_f32_e32 v188, 0x3dbcf732, v104
	v_add_f32_e32 v4, v141, v4
	v_fmac_f32_e32 v142, 0xbf65296c, v90
	v_fmac_f32_e32 v121, 0x3f2c7751, v87
	v_mov_b32_e32 v122, v188
	v_add_f32_e32 v4, v142, v4
	v_fmac_f32_e32 v143, 0xbe3c28d5, v91
	v_add_f32_e32 v121, v33, v121
	v_fmac_f32_e32 v122, 0x3f7ee86f, v88
	v_mul_f32_e32 v189, 0xbf1a4643, v105
	v_add_f32_e32 v4, v143, v4
	v_fmac_f32_e32 v144, 0x3f7ee86f, v92
	v_add_f32_e32 v121, v122, v121
	v_mov_b32_e32 v122, v189
	v_add_f32_e32 v4, v144, v4
	v_fmac_f32_e32 v145, 0xbeb8f4ab, v93
	v_fmac_f32_e32 v122, 0x3f4c4adb, v89
	v_mul_f32_e32 v190, 0xbf7ba420, v106
	v_add_f32_e32 v4, v145, v4
	v_fmac_f32_e32 v146, 0xbf4c4adb, v94
	v_add_f32_e32 v121, v122, v121
	v_mov_b32_e32 v122, v190
	v_add_f32_e32 v5, v146, v4
	v_fma_f32 v4, v95, s17, -v147
	v_fmac_f32_e32 v122, 0x3e3c28d5, v90
	v_mul_f32_e32 v191, 0xbf59a7d5, v107
	v_add_f32_e32 v4, v32, v4
	v_fma_f32 v6, v96, s2, -v148
	v_add_f32_e32 v121, v122, v121
	v_mov_b32_e32 v122, v191
	v_add_f32_e32 v4, v6, v4
	v_fma_f32 v6, v97, s16, -v149
	v_fmac_f32_e32 v122, 0xbf06c442, v91
	v_mul_f32_e32 v192, 0xbe8c1d8e, v108
	v_add_f32_e32 v4, v6, v4
	v_fma_f32 v6, v98, s3, -v150
	;; [unrolled: 8-line block ×4, first 2 shown]
	v_fmac_f32_e32 v155, 0xbf7ee86f, v87
	v_add_f32_e32 v121, v122, v121
	v_mov_b32_e32 v122, v194
	v_add_f32_e32 v4, v6, v4
	v_add_f32_e32 v6, v33, v155
	v_fmac_f32_e32 v156, 0xbe3c28d5, v88
	v_fmac_f32_e32 v122, 0xbeb8f4ab, v94
	v_mul_f32_e32 v195, 0xbf2c7751, v111
	v_add_f32_e32 v6, v156, v6
	v_fmac_f32_e32 v157, 0x3f763a35, v89
	v_add_f32_e32 v122, v122, v121
	v_mov_b32_e32 v121, v195
	v_mul_f32_e32 v196, 0xbf7ee86f, v112
	v_add_f32_e32 v6, v157, v6
	v_fmac_f32_e32 v158, 0x3eb8f4ab, v90
	v_fmac_f32_e32 v121, 0x3f3d2fb0, v95
	v_mov_b32_e32 v197, v196
	v_add_f32_e32 v6, v158, v6
	v_fmac_f32_e32 v159, 0xbf65296c, v91
	v_add_f32_e32 v121, v32, v121
	v_fmac_f32_e32 v197, 0x3dbcf732, v96
	;; [unrolled: 2-line block ×3, first 2 shown]
	v_add_f32_e32 v121, v197, v121
	v_mul_f32_e32 v197, 0xbf4c4adb, v113
	v_add_f32_e32 v6, v160, v6
	v_fmac_f32_e32 v161, 0x3f4c4adb, v93
	v_mov_b32_e32 v198, v197
	v_add_f32_e32 v6, v161, v6
	v_fmac_f32_e32 v162, 0x3f2c7751, v94
	v_fmac_f32_e32 v198, 0xbf1a4643, v97
	v_add_f32_e32 v7, v162, v6
	v_fma_f32 v6, v95, s8, -v163
	v_add_f32_e32 v121, v198, v121
	v_mul_f32_e32 v198, 0xbe3c28d5, v114
	v_add_f32_e32 v6, v32, v6
	v_fma_f32 v34, v96, s10, -v164
	v_mov_b32_e32 v199, v198
	v_add_f32_e32 v6, v34, v6
	v_fma_f32 v34, v97, s17, -v165
	v_fmac_f32_e32 v199, 0xbf7ba420, v98
	v_add_f32_e32 v6, v34, v6
	v_fma_f32 v34, v98, s11, -v166
	v_add_f32_e32 v121, v199, v121
	v_mul_f32_e32 v199, 0x3f06c442, v115
	v_add_f32_e32 v6, v34, v6
	v_fma_f32 v34, v99, s3, -v167
	v_mov_b32_e32 v200, v199
	v_add_f32_e32 v6, v34, v6
	v_fma_f32 v34, v100, s2, -v168
	v_fmac_f32_e32 v200, 0xbf59a7d5, v99
	v_add_f32_e32 v6, v34, v6
	v_fma_f32 v34, v101, s9, -v169
	v_add_f32_e32 v121, v200, v121
	v_mul_f32_e32 v200, 0x3f763a35, v116
	v_add_f32_e32 v6, v34, v6
	v_fma_f32 v34, v102, s16, -v170
	v_fmac_f32_e32 v171, 0xbf65296c, v87
	v_mov_b32_e32 v201, v200
	v_add_f32_e32 v6, v34, v6
	v_add_f32_e32 v34, v33, v171
	v_fmac_f32_e32 v172, 0xbf4c4adb, v88
	v_fmac_f32_e32 v201, 0xbe8c1d8e, v100
	v_add_f32_e32 v34, v172, v34
	v_fmac_f32_e32 v173, 0x3e3c28d5, v89
	v_add_f32_e32 v121, v201, v121
	v_mul_f32_e32 v201, 0x3f65296c, v117
	v_add_f32_e32 v34, v173, v34
	v_fmac_f32_e32 v174, 0x3f763a35, v90
	v_mov_b32_e32 v202, v201
	v_add_f32_e32 v34, v174, v34
	v_fmac_f32_e32 v175, 0x3f2c7751, v91
	v_fmac_f32_e32 v202, 0x3ee437d1, v101
	v_add_f32_e32 v34, v175, v34
	v_fmac_f32_e32 v176, 0xbeb8f4ab, v92
	v_add_f32_e32 v121, v202, v121
	v_mul_f32_e32 v202, 0x3eb8f4ab, v118
	v_add_f32_e32 v34, v176, v34
	v_fmac_f32_e32 v177, 0xbf7ee86f, v93
	v_mov_b32_e32 v203, v202
	v_add_f32_e32 v34, v177, v34
	v_fmac_f32_e32 v178, 0xbf06c442, v94
	v_fmac_f32_e32 v203, 0x3f6eb680, v102
	v_add_f32_e32 v35, v178, v34
	v_fma_f32 v34, v95, s3, -v179
	v_add_f32_e32 v121, v203, v121
	v_mul_f32_e32 v203, 0x3f6eb680, v103
	v_add_f32_e32 v34, v32, v34
	v_fma_f32 v36, v96, s9, -v180
	v_mov_b32_e32 v103, v203
	v_mul_f32_e32 v204, 0x3f3d2fb0, v104
	v_add_f32_e32 v34, v36, v34
	v_fma_f32 v36, v97, s10, -v181
	v_fmac_f32_e32 v103, 0x3eb8f4ab, v87
	v_mov_b32_e32 v104, v204
	v_add_f32_e32 v34, v36, v34
	v_fma_f32 v36, v98, s17, -v182
	v_add_f32_e32 v103, v33, v103
	v_fmac_f32_e32 v104, 0x3f2c7751, v88
	v_mul_f32_e32 v105, 0x3ee437d1, v105
	v_add_f32_e32 v34, v36, v34
	v_fma_f32 v36, v99, s16, -v183
	v_add_f32_e32 v103, v104, v103
	v_mov_b32_e32 v104, v105
	v_add_f32_e32 v34, v36, v34
	v_fma_f32 v36, v100, s11, -v184
	v_fmac_f32_e32 v104, 0x3f65296c, v89
	v_mul_f32_e32 v106, 0x3dbcf732, v106
	v_add_f32_e32 v34, v36, v34
	v_fma_f32 v36, v101, s8, -v185
	v_add_f32_e32 v103, v104, v103
	v_mov_b32_e32 v104, v106
	v_add_f32_e32 v34, v36, v34
	v_fma_f32 v36, v102, s2, -v186
	v_fmac_f32_e32 v187, 0xbf2c7751, v87
	v_fmac_f32_e32 v104, 0x3f7ee86f, v90
	v_mul_f32_e32 v107, 0xbe8c1d8e, v107
	v_add_f32_e32 v34, v36, v34
	v_add_f32_e32 v36, v33, v187
	v_fmac_f32_e32 v188, 0xbf7ee86f, v88
	v_add_f32_e32 v103, v104, v103
	v_mov_b32_e32 v104, v107
	v_add_f32_e32 v36, v188, v36
	v_fmac_f32_e32 v189, 0xbf4c4adb, v89
	v_fmac_f32_e32 v104, 0x3f763a35, v91
	v_mul_f32_e32 v108, 0xbf1a4643, v108
	v_add_f32_e32 v36, v189, v36
	v_fmac_f32_e32 v190, 0xbe3c28d5, v90
	v_add_f32_e32 v103, v104, v103
	v_mov_b32_e32 v104, v108
	v_add_f32_e32 v36, v190, v36
	v_fmac_f32_e32 v191, 0x3f06c442, v91
	v_fmac_f32_e32 v104, 0x3f4c4adb, v92
	v_mul_f32_e32 v109, 0xbf59a7d5, v109
	;; [unrolled: 8-line block ×3, first 2 shown]
	v_add_f32_e32 v36, v193, v36
	v_fmac_f32_e32 v194, 0x3eb8f4ab, v94
	v_add_f32_e32 v103, v104, v103
	v_mov_b32_e32 v104, v110
	v_add_f32_e32 v37, v194, v36
	v_fma_f32 v36, v95, s16, -v195
	v_fmac_f32_e32 v104, 0x3e3c28d5, v94
	v_mul_f32_e32 v111, 0xbeb8f4ab, v111
	v_add_f32_e32 v36, v32, v36
	v_fma_f32 v38, v96, s8, -v196
	v_add_f32_e32 v104, v104, v103
	v_mov_b32_e32 v103, v111
	v_mul_f32_e32 v112, 0xbf2c7751, v112
	v_add_f32_e32 v36, v38, v36
	v_fma_f32 v38, v97, s9, -v197
	v_fmac_f32_e32 v103, 0x3f6eb680, v95
	v_mov_b32_e32 v205, v112
	v_add_f32_e32 v36, v38, v36
	v_fma_f32 v38, v98, s10, -v198
	v_add_f32_e32 v103, v32, v103
	v_fmac_f32_e32 v205, 0x3f3d2fb0, v96
	v_mul_f32_e32 v113, 0xbf65296c, v113
	v_add_f32_e32 v36, v38, v36
	v_fma_f32 v38, v99, s2, -v199
	v_add_f32_e32 v103, v205, v103
	v_mov_b32_e32 v205, v113
	v_add_f32_e32 v36, v38, v36
	v_fma_f32 v38, v100, s17, -v200
	v_fmac_f32_e32 v205, 0x3ee437d1, v97
	v_mul_f32_e32 v114, 0xbf7ee86f, v114
	v_add_f32_e32 v36, v38, v36
	v_fma_f32 v38, v101, s3, -v201
	v_add_f32_e32 v103, v205, v103
	v_mov_b32_e32 v205, v114
	v_add_f32_e32 v36, v38, v36
	v_fma_f32 v38, v102, s11, -v202
	;; [unrolled: 8-line block ×3, first 2 shown]
	v_fmac_f32_e32 v205, 0xbe8c1d8e, v99
	v_mul_f32_e32 v116, 0xbf4c4adb, v116
	v_fmac_f32_e32 v203, 0xbeb8f4ab, v87
	v_add_f32_e32 v32, v38, v32
	v_fma_f32 v38, v97, s3, -v113
	v_add_f32_e32 v103, v205, v103
	v_mov_b32_e32 v205, v116
	v_add_f32_e32 v33, v33, v203
	v_fmac_f32_e32 v204, 0xbf2c7751, v88
	v_add_f32_e32 v32, v38, v32
	v_fma_f32 v38, v98, s8, -v114
	v_fmac_f32_e32 v205, 0xbf1a4643, v100
	v_mul_f32_e32 v117, 0xbf06c442, v117
	v_add_f32_e32 v33, v204, v33
	v_fmac_f32_e32 v105, 0xbf65296c, v89
	v_add_f32_e32 v32, v38, v32
	v_fma_f32 v38, v99, s17, -v115
	v_add_f32_e32 v103, v205, v103
	v_mov_b32_e32 v205, v117
	v_add_f32_e32 v33, v105, v33
	v_fmac_f32_e32 v106, 0xbf7ee86f, v90
	v_add_f32_e32 v32, v38, v32
	v_fma_f32 v38, v100, s9, -v116
	v_fmac_f32_e32 v205, 0xbf59a7d5, v101
	v_mul_f32_e32 v118, 0xbe3c28d5, v118
	v_add_f32_e32 v33, v106, v33
	v_fmac_f32_e32 v107, 0xbf763a35, v91
	v_add_f32_e32 v32, v38, v32
	v_fma_f32 v38, v101, s2, -v117
	v_add_f32_e32 v103, v205, v103
	v_mov_b32_e32 v205, v118
	v_add_f32_e32 v33, v107, v33
	v_fmac_f32_e32 v108, 0xbf4c4adb, v92
	v_add_f32_e32 v32, v38, v32
	v_fma_f32 v38, v102, s10, -v118
	v_fmac_f32_e32 v205, 0xbf7ba420, v102
	v_add_f32_e32 v33, v108, v33
	v_fmac_f32_e32 v109, 0xbf06c442, v93
	v_add_f32_e32 v32, v38, v32
	v_mul_lo_u16_e32 v38, 17, v77
	v_add_f32_e32 v103, v205, v103
	v_add_f32_e32 v1, v58, v1
	;; [unrolled: 1-line block ×4, first 2 shown]
	v_fmac_f32_e32 v110, 0xbe3c28d5, v94
	v_lshl_add_u32 v38, v38, 3, v81
	v_add_f32_e32 v33, v110, v33
	ds_write2_b64 v38, v[0:1], v[103:104] offset1:1
	ds_write2_b64 v38, v[121:122], v[119:120] offset0:2 offset1:3
	ds_write2_b64 v38, v[75:76], v[73:74] offset0:4 offset1:5
	;; [unrolled: 1-line block ×7, first 2 shown]
	ds_write_b64 v38, v[32:33] offset:128
.LBB0_13:
	s_or_b64 exec, exec, s[0:1]
	s_waitcnt lgkmcnt(0)
	s_barrier
	ds_read2_b64 v[0:3], v82 offset1:17
	ds_read2_b64 v[4:7], v82 offset0:34 offset1:51
	ds_read2_b64 v[32:35], v82 offset0:102 offset1:119
	;; [unrolled: 1-line block ×5, first 2 shown]
	s_waitcnt lgkmcnt(4)
	v_mul_f32_e32 v48, v9, v7
	v_fmac_f32_e32 v48, v8, v6
	v_mul_f32_e32 v6, v9, v6
	v_fma_f32 v6, v8, v7, -v6
	s_waitcnt lgkmcnt(3)
	v_mul_f32_e32 v7, v11, v33
	v_fmac_f32_e32 v7, v10, v32
	v_mul_f32_e32 v32, v11, v32
	v_fma_f32 v32, v10, v33, -v32
	;; [unrolled: 5-line block ×3, first 2 shown]
	s_waitcnt lgkmcnt(1)
	v_mul_f32_e32 v39, v9, v41
	v_mul_f32_e32 v9, v9, v40
	v_fmac_f32_e32 v39, v8, v40
	v_fma_f32 v40, v8, v41, -v9
	v_mul_f32_e32 v41, v11, v35
	v_mul_f32_e32 v8, v11, v34
	v_fmac_f32_e32 v41, v10, v34
	v_fma_f32 v34, v10, v35, -v8
	s_waitcnt lgkmcnt(0)
	v_mul_f32_e32 v35, v60, v45
	v_mul_f32_e32 v8, v60, v44
	v_fmac_f32_e32 v35, v59, v44
	v_fma_f32 v44, v59, v45, -v8
	v_mul_f32_e32 v45, v13, v43
	v_mul_f32_e32 v8, v13, v42
	v_fmac_f32_e32 v45, v12, v42
	v_fma_f32 v42, v12, v43, -v8
	;; [unrolled: 4-line block ×3, first 2 shown]
	v_mul_f32_e32 v37, v62, v47
	v_mul_f32_e32 v8, v62, v46
	v_sub_f32_e32 v10, v0, v7
	v_sub_f32_e32 v11, v1, v32
	;; [unrolled: 1-line block ×4, first 2 shown]
	v_fmac_f32_e32 v37, v61, v46
	v_fma_f32 v46, v61, v47, -v8
	v_fma_f32 v7, v0, 2.0, -v10
	v_fma_f32 v8, v1, 2.0, -v11
	;; [unrolled: 1-line block ×4, first 2 shown]
	v_sub_f32_e32 v0, v7, v0
	v_sub_f32_e32 v1, v8, v1
	;; [unrolled: 1-line block ×4, first 2 shown]
	v_fma_f32 v6, v7, 2.0, -v0
	v_fma_f32 v7, v8, 2.0, -v1
	v_add_f32_e32 v8, v10, v12
	v_sub_f32_e32 v33, v3, v34
	v_fma_f32 v12, v2, 2.0, -v32
	v_sub_f32_e32 v14, v40, v44
	v_fma_f32 v2, v39, 2.0, -v15
	v_sub_f32_e32 v38, v4, v43
	v_sub_f32_e32 v39, v5, v36
	;; [unrolled: 1-line block ×4, first 2 shown]
	v_fma_f32 v13, v3, 2.0, -v33
	v_fma_f32 v3, v40, 2.0, -v14
	;; [unrolled: 1-line block ×6, first 2 shown]
	v_sub_f32_e32 v9, v11, v9
	v_sub_f32_e32 v2, v12, v2
	;; [unrolled: 1-line block ×3, first 2 shown]
	v_add_f32_e32 v14, v32, v14
	v_sub_f32_e32 v15, v33, v15
	v_sub_f32_e32 v4, v34, v4
	;; [unrolled: 1-line block ×3, first 2 shown]
	v_add_f32_e32 v36, v38, v36
	v_sub_f32_e32 v37, v39, v37
	v_fma_f32 v10, v10, 2.0, -v8
	v_fma_f32 v11, v11, 2.0, -v9
	;; [unrolled: 1-line block ×10, first 2 shown]
	s_barrier
	ds_write2_b64 v82, v[6:7], v[10:11] offset1:17
	ds_write2_b64 v82, v[0:1], v[8:9] offset0:34 offset1:51
	ds_write2_b64 v82, v[12:13], v[32:33] offset0:68 offset1:85
	ds_write2_b64 v82, v[2:3], v[14:15] offset0:102 offset1:119
	ds_write2_b64 v83, v[34:35], v[38:39] offset0:136 offset1:153
	ds_write2_b64 v83, v[4:5], v[36:37] offset0:170 offset1:187
	s_waitcnt lgkmcnt(0)
	s_barrier
	ds_read2_b64 v[0:3], v82 offset1:17
	ds_read2_b64 v[4:7], v82 offset0:68 offset1:85
	ds_read2_b64 v[8:11], v82 offset0:136 offset1:153
	ds_read2_b64 v[12:15], v82 offset0:34 offset1:51
	ds_read2_b64 v[32:35], v82 offset0:102 offset1:119
	ds_read2_b64 v[36:39], v82 offset0:170 offset1:187
	s_waitcnt lgkmcnt(4)
	v_mul_f32_e32 v40, v17, v5
	v_fmac_f32_e32 v40, v16, v4
	v_mul_f32_e32 v4, v17, v4
	v_fma_f32 v16, v16, v5, -v4
	s_waitcnt lgkmcnt(3)
	v_mul_f32_e32 v17, v19, v9
	v_mul_f32_e32 v4, v19, v8
	v_fmac_f32_e32 v17, v18, v8
	v_fma_f32 v8, v18, v9, -v4
	v_mul_f32_e32 v4, v21, v6
	v_mul_f32_e32 v18, v21, v7
	v_fma_f32 v19, v20, v7, -v4
	v_mul_f32_e32 v4, v23, v10
	v_fmac_f32_e32 v18, v20, v6
	v_mul_f32_e32 v20, v23, v11
	v_fma_f32 v11, v22, v11, -v4
	s_waitcnt lgkmcnt(1)
	v_mul_f32_e32 v4, v25, v32
	v_fmac_f32_e32 v20, v22, v10
	v_mul_f32_e32 v21, v25, v33
	v_fma_f32 v22, v24, v33, -v4
	s_waitcnt lgkmcnt(0)
	v_mul_f32_e32 v4, v27, v36
	v_fmac_f32_e32 v21, v24, v32
	v_mul_f32_e32 v23, v27, v37
	v_fma_f32 v24, v26, v37, -v4
	v_mul_f32_e32 v4, v29, v34
	v_fmac_f32_e32 v23, v26, v36
	v_mul_f32_e32 v25, v29, v35
	v_fma_f32 v26, v28, v35, -v4
	v_mul_f32_e32 v4, v31, v38
	v_add_f32_e32 v5, v40, v17
	v_fmac_f32_e32 v25, v28, v34
	v_fma_f32 v28, v30, v39, -v4
	v_add_f32_e32 v4, v0, v40
	v_fma_f32 v0, -0.5, v5, v0
	v_sub_f32_e32 v5, v16, v8
	v_mov_b32_e32 v6, v0
	v_add_f32_e32 v7, v16, v8
	v_fmac_f32_e32 v6, 0xbf5db3d7, v5
	v_fmac_f32_e32 v0, 0x3f5db3d7, v5
	v_add_f32_e32 v5, v1, v16
	v_fma_f32 v1, -0.5, v7, v1
	v_add_f32_e32 v5, v5, v8
	v_sub_f32_e32 v8, v40, v17
	v_mov_b32_e32 v7, v1
	v_add_f32_e32 v9, v18, v20
	v_fmac_f32_e32 v7, 0x3f5db3d7, v8
	v_fmac_f32_e32 v1, 0xbf5db3d7, v8
	v_add_f32_e32 v8, v2, v18
	v_fma_f32 v2, -0.5, v9, v2
	v_sub_f32_e32 v9, v19, v11
	v_mov_b32_e32 v10, v2
	v_fmac_f32_e32 v10, 0xbf5db3d7, v9
	v_fmac_f32_e32 v2, 0x3f5db3d7, v9
	v_add_f32_e32 v9, v3, v19
	v_add_f32_e32 v9, v9, v11
	;; [unrolled: 1-line block ×3, first 2 shown]
	v_fmac_f32_e32 v3, -0.5, v11
	v_add_f32_e32 v4, v4, v17
	v_sub_f32_e32 v16, v18, v20
	v_mov_b32_e32 v11, v3
	v_add_f32_e32 v17, v21, v23
	v_fmac_f32_e32 v11, 0x3f5db3d7, v16
	v_fmac_f32_e32 v3, 0xbf5db3d7, v16
	v_add_f32_e32 v16, v12, v21
	v_fma_f32 v12, -0.5, v17, v12
	v_mul_f32_e32 v27, v31, v39
	v_sub_f32_e32 v17, v22, v24
	v_mov_b32_e32 v18, v12
	v_add_f32_e32 v19, v22, v24
	v_fmac_f32_e32 v27, v30, v38
	v_fmac_f32_e32 v18, 0xbf5db3d7, v17
	;; [unrolled: 1-line block ×3, first 2 shown]
	v_add_f32_e32 v17, v13, v22
	v_fma_f32 v13, -0.5, v19, v13
	v_add_f32_e32 v8, v8, v20
	v_sub_f32_e32 v20, v21, v23
	v_mov_b32_e32 v19, v13
	v_add_f32_e32 v21, v25, v27
	v_fmac_f32_e32 v19, 0x3f5db3d7, v20
	v_fmac_f32_e32 v13, 0xbf5db3d7, v20
	v_add_f32_e32 v20, v14, v25
	v_fma_f32 v14, -0.5, v21, v14
	v_add_f32_e32 v16, v16, v23
	v_sub_f32_e32 v21, v26, v28
	v_mov_b32_e32 v22, v14
	v_add_f32_e32 v23, v26, v28
	v_fmac_f32_e32 v22, 0xbf5db3d7, v21
	v_fmac_f32_e32 v14, 0x3f5db3d7, v21
	v_add_f32_e32 v21, v15, v26
	v_fmac_f32_e32 v15, -0.5, v23
	v_add_f32_e32 v17, v17, v24
	v_sub_f32_e32 v24, v25, v27
	v_mov_b32_e32 v23, v15
	v_add_f32_e32 v20, v20, v27
	v_add_f32_e32 v21, v21, v28
	v_fmac_f32_e32 v23, 0x3f5db3d7, v24
	v_fmac_f32_e32 v15, 0xbf5db3d7, v24
	ds_write2_b64 v84, v[4:5], v[8:9] offset1:17
	ds_write2_b64 v84, v[6:7], v[10:11] offset0:68 offset1:85
	ds_write2_b64 v84, v[0:1], v[2:3] offset0:136 offset1:153
	ds_write_b64 v84, v[16:17] offset:272
	ds_write2_b64 v86, v[18:19], v[12:13] offset0:68 offset1:136
	ds_write_b64 v84, v[20:21] offset:408
	ds_write2_b64 v85, v[22:23], v[14:15] offset0:68 offset1:136
	s_waitcnt lgkmcnt(0)
	s_barrier
	s_and_b64 exec, exec, vcc
	s_cbranch_execz .LBB0_15
; %bb.14:
	global_load_dwordx2 v[0:1], v78, s[12:13]
	ds_read_b64 v[4:5], v84
	v_mad_u64_u32 v[2:3], s[0:1], s6, v56, 0
	v_mad_u64_u32 v[6:7], s[0:1], s4, v77, 0
	s_waitcnt lgkmcnt(0)
	v_mad_u64_u32 v[8:9], s[2:3], s7, v56, v[3:4]
	s_mov_b32 s0, 0x14141414
	s_mov_b32 s1, 0x3f741414
	v_mad_u64_u32 v[9:10], s[2:3], s5, v77, v[7:8]
	v_mov_b32_e32 v11, s15
	s_mul_i32 s3, s5, 0x60
	v_mov_b32_e32 v7, v9
	v_lshlrev_b64 v[6:7], 3, v[6:7]
	s_mul_hi_u32 s6, s4, 0x60
	s_mul_i32 s2, s4, 0x60
	s_add_i32 s3, s6, s3
	s_mul_hi_u32 s8, s4, 0xc0
	s_waitcnt vmcnt(0)
	v_mul_f32_e32 v3, v5, v1
	v_mul_f32_e32 v1, v4, v1
	v_fmac_f32_e32 v3, v4, v0
	v_fma_f32 v4, v0, v5, -v1
	v_cvt_f64_f32_e32 v[0:1], v3
	v_cvt_f64_f32_e32 v[4:5], v4
	v_mov_b32_e32 v3, v8
	v_lshlrev_b64 v[2:3], 3, v[2:3]
	v_mul_f64 v[0:1], v[0:1], s[0:1]
	v_mul_f64 v[4:5], v[4:5], s[0:1]
	v_add_co_u32_e32 v9, vcc, s14, v2
	v_addc_co_u32_e32 v10, vcc, v11, v3, vcc
	v_lshl_add_u32 v11, v80, 3, v78
	v_cvt_f32_f64_e32 v0, v[0:1]
	v_cvt_f32_f64_e32 v1, v[4:5]
	v_add_co_u32_e32 v4, vcc, v9, v6
	v_addc_co_u32_e32 v5, vcc, v10, v7, vcc
	global_store_dwordx2 v[4:5], v[0:1], off
	global_load_dwordx2 v[6:7], v78, s[12:13] offset:96
	ds_read2_b64 v[0:3], v11 offset0:12 offset1:24
	v_add_co_u32_e32 v4, vcc, s2, v4
	s_waitcnt vmcnt(0) lgkmcnt(0)
	v_mul_f32_e32 v8, v1, v7
	v_mul_f32_e32 v7, v0, v7
	v_fmac_f32_e32 v8, v0, v6
	v_fma_f32 v6, v6, v1, -v7
	v_cvt_f64_f32_e32 v[0:1], v8
	v_cvt_f64_f32_e32 v[6:7], v6
	v_mov_b32_e32 v8, s3
	v_addc_co_u32_e32 v5, vcc, v5, v8, vcc
	v_mul_f64 v[0:1], v[0:1], s[0:1]
	v_mul_f64 v[6:7], v[6:7], s[0:1]
	v_cvt_f32_f64_e32 v0, v[0:1]
	v_cvt_f32_f64_e32 v1, v[6:7]
	global_store_dwordx2 v[4:5], v[0:1], off
	global_load_dwordx2 v[0:1], v78, s[12:13] offset:192
	v_add_co_u32_e32 v4, vcc, s2, v4
	s_waitcnt vmcnt(0)
	v_mul_f32_e32 v6, v3, v1
	v_mul_f32_e32 v1, v2, v1
	v_fmac_f32_e32 v6, v2, v0
	v_fma_f32 v2, v0, v3, -v1
	v_cvt_f64_f32_e32 v[0:1], v6
	v_cvt_f64_f32_e32 v[2:3], v2
	v_mov_b32_e32 v6, s3
	v_addc_co_u32_e32 v5, vcc, v5, v6, vcc
	v_mul_f64 v[0:1], v[0:1], s[0:1]
	v_mul_f64 v[2:3], v[2:3], s[0:1]
	v_cvt_f32_f64_e32 v0, v[0:1]
	v_cvt_f32_f64_e32 v1, v[2:3]
	global_store_dwordx2 v[4:5], v[0:1], off
	global_load_dwordx2 v[6:7], v78, s[12:13] offset:288
	ds_read2_b64 v[0:3], v11 offset0:36 offset1:48
	v_add_co_u32_e32 v4, vcc, s2, v4
	s_waitcnt vmcnt(0) lgkmcnt(0)
	v_mul_f32_e32 v8, v1, v7
	v_mul_f32_e32 v7, v0, v7
	v_fmac_f32_e32 v8, v0, v6
	v_fma_f32 v6, v6, v1, -v7
	v_cvt_f64_f32_e32 v[0:1], v8
	v_cvt_f64_f32_e32 v[6:7], v6
	v_mov_b32_e32 v8, s3
	v_addc_co_u32_e32 v5, vcc, v5, v8, vcc
	v_mul_f64 v[0:1], v[0:1], s[0:1]
	v_mul_f64 v[6:7], v[6:7], s[0:1]
	v_cvt_f32_f64_e32 v0, v[0:1]
	v_cvt_f32_f64_e32 v1, v[6:7]
	v_mad_u64_u32 v[6:7], s[6:7], s4, v79, 0
	global_store_dwordx2 v[4:5], v[0:1], off
	global_load_dwordx2 v[0:1], v78, s[12:13] offset:384
	s_waitcnt vmcnt(0)
	v_mul_f32_e32 v8, v3, v1
	v_mul_f32_e32 v1, v2, v1
	v_fmac_f32_e32 v8, v2, v0
	v_fma_f32 v2, v0, v3, -v1
	v_cvt_f64_f32_e32 v[0:1], v8
	v_cvt_f64_f32_e32 v[2:3], v2
	v_mad_u64_u32 v[7:8], s[6:7], s5, v79, v[7:8]
	v_mul_f64 v[0:1], v[0:1], s[0:1]
	v_mul_f64 v[2:3], v[2:3], s[0:1]
	v_lshlrev_b64 v[6:7], 3, v[6:7]
	s_mul_i32 s7, s5, 0xc0
	s_mul_i32 s6, s4, 0xc0
	s_add_i32 s7, s8, s7
	v_cvt_f32_f64_e32 v0, v[0:1]
	v_cvt_f32_f64_e32 v1, v[2:3]
	v_add_co_u32_e32 v2, vcc, v9, v6
	v_addc_co_u32_e32 v3, vcc, v10, v7, vcc
	global_store_dwordx2 v[2:3], v[0:1], off
	global_load_dwordx2 v[6:7], v78, s[12:13] offset:480
	ds_read2_b64 v[0:3], v11 offset0:60 offset1:72
	v_add_co_u32_e32 v4, vcc, s6, v4
	s_waitcnt vmcnt(0) lgkmcnt(0)
	v_mul_f32_e32 v8, v1, v7
	v_mul_f32_e32 v7, v0, v7
	v_fmac_f32_e32 v8, v0, v6
	v_fma_f32 v6, v6, v1, -v7
	v_cvt_f64_f32_e32 v[0:1], v8
	v_cvt_f64_f32_e32 v[6:7], v6
	v_mov_b32_e32 v8, s7
	v_addc_co_u32_e32 v5, vcc, v5, v8, vcc
	v_mul_f64 v[0:1], v[0:1], s[0:1]
	v_mul_f64 v[6:7], v[6:7], s[0:1]
	v_cvt_f32_f64_e32 v0, v[0:1]
	v_cvt_f32_f64_e32 v1, v[6:7]
	global_store_dwordx2 v[4:5], v[0:1], off
	global_load_dwordx2 v[0:1], v78, s[12:13] offset:576
	v_add_co_u32_e32 v4, vcc, s2, v4
	s_waitcnt vmcnt(0)
	v_mul_f32_e32 v6, v3, v1
	v_mul_f32_e32 v1, v2, v1
	v_fmac_f32_e32 v6, v2, v0
	v_fma_f32 v2, v0, v3, -v1
	v_cvt_f64_f32_e32 v[0:1], v6
	v_cvt_f64_f32_e32 v[2:3], v2
	v_mov_b32_e32 v6, s3
	v_addc_co_u32_e32 v5, vcc, v5, v6, vcc
	v_mul_f64 v[0:1], v[0:1], s[0:1]
	v_mul_f64 v[2:3], v[2:3], s[0:1]
	v_cvt_f32_f64_e32 v0, v[0:1]
	v_cvt_f32_f64_e32 v1, v[2:3]
	global_store_dwordx2 v[4:5], v[0:1], off
	global_load_dwordx2 v[6:7], v78, s[12:13] offset:672
	ds_read2_b64 v[0:3], v11 offset0:84 offset1:96
	v_add_co_u32_e32 v4, vcc, s2, v4
	s_waitcnt vmcnt(0) lgkmcnt(0)
	v_mul_f32_e32 v8, v1, v7
	v_mul_f32_e32 v7, v0, v7
	v_fmac_f32_e32 v8, v0, v6
	v_fma_f32 v6, v6, v1, -v7
	v_cvt_f64_f32_e32 v[0:1], v8
	v_cvt_f64_f32_e32 v[6:7], v6
	v_mov_b32_e32 v8, s3
	v_addc_co_u32_e32 v5, vcc, v5, v8, vcc
	v_mul_f64 v[0:1], v[0:1], s[0:1]
	v_mul_f64 v[6:7], v[6:7], s[0:1]
	v_or_b32_e32 v8, 0x60, v77
	v_cvt_f32_f64_e32 v0, v[0:1]
	v_cvt_f32_f64_e32 v1, v[6:7]
	v_mad_u64_u32 v[6:7], s[8:9], s4, v8, 0
	global_store_dwordx2 v[4:5], v[0:1], off
	global_load_dwordx2 v[0:1], v78, s[12:13] offset:768
	v_mad_u64_u32 v[7:8], s[8:9], s5, v8, v[7:8]
	v_lshlrev_b64 v[6:7], 3, v[6:7]
	s_waitcnt vmcnt(0)
	v_mul_f32_e32 v12, v3, v1
	v_mul_f32_e32 v1, v2, v1
	v_fmac_f32_e32 v12, v2, v0
	v_fma_f32 v2, v0, v3, -v1
	v_cvt_f64_f32_e32 v[0:1], v12
	v_cvt_f64_f32_e32 v[2:3], v2
	v_mul_f64 v[0:1], v[0:1], s[0:1]
	v_mul_f64 v[2:3], v[2:3], s[0:1]
	v_cvt_f32_f64_e32 v0, v[0:1]
	v_cvt_f32_f64_e32 v1, v[2:3]
	v_add_co_u32_e32 v2, vcc, v9, v6
	v_addc_co_u32_e32 v3, vcc, v10, v7, vcc
	global_store_dwordx2 v[2:3], v[0:1], off
	global_load_dwordx2 v[6:7], v78, s[12:13] offset:864
	ds_read2_b64 v[0:3], v11 offset0:108 offset1:120
	v_add_co_u32_e32 v4, vcc, s6, v4
	s_waitcnt vmcnt(0) lgkmcnt(0)
	v_mul_f32_e32 v8, v1, v7
	v_mul_f32_e32 v7, v0, v7
	v_fmac_f32_e32 v8, v0, v6
	v_fma_f32 v6, v6, v1, -v7
	v_cvt_f64_f32_e32 v[0:1], v8
	v_cvt_f64_f32_e32 v[6:7], v6
	v_mov_b32_e32 v8, s7
	v_addc_co_u32_e32 v5, vcc, v5, v8, vcc
	v_mul_f64 v[0:1], v[0:1], s[0:1]
	v_mul_f64 v[6:7], v[6:7], s[0:1]
	v_cvt_f32_f64_e32 v0, v[0:1]
	v_cvt_f32_f64_e32 v1, v[6:7]
	global_store_dwordx2 v[4:5], v[0:1], off
	global_load_dwordx2 v[0:1], v78, s[12:13] offset:960
	v_add_co_u32_e32 v4, vcc, s2, v4
	s_waitcnt vmcnt(0)
	v_mul_f32_e32 v6, v3, v1
	v_mul_f32_e32 v1, v2, v1
	v_fmac_f32_e32 v6, v2, v0
	v_fma_f32 v2, v0, v3, -v1
	v_cvt_f64_f32_e32 v[0:1], v6
	v_cvt_f64_f32_e32 v[2:3], v2
	v_mov_b32_e32 v6, s3
	v_addc_co_u32_e32 v5, vcc, v5, v6, vcc
	v_mul_f64 v[0:1], v[0:1], s[0:1]
	v_mul_f64 v[2:3], v[2:3], s[0:1]
	v_cvt_f32_f64_e32 v0, v[0:1]
	v_cvt_f32_f64_e32 v1, v[2:3]
	global_store_dwordx2 v[4:5], v[0:1], off
	global_load_dwordx2 v[6:7], v78, s[12:13] offset:1056
	ds_read2_b64 v[0:3], v11 offset0:132 offset1:144
	v_add_co_u32_e32 v4, vcc, s2, v4
	s_waitcnt vmcnt(0) lgkmcnt(0)
	v_mul_f32_e32 v8, v1, v7
	v_mul_f32_e32 v7, v0, v7
	v_fmac_f32_e32 v8, v0, v6
	v_fma_f32 v6, v6, v1, -v7
	v_cvt_f64_f32_e32 v[0:1], v8
	v_cvt_f64_f32_e32 v[6:7], v6
	v_mov_b32_e32 v8, s3
	v_addc_co_u32_e32 v5, vcc, v5, v8, vcc
	v_mul_f64 v[0:1], v[0:1], s[0:1]
	v_mul_f64 v[6:7], v[6:7], s[0:1]
	v_or_b32_e32 v8, 0x90, v77
	v_cvt_f32_f64_e32 v0, v[0:1]
	v_cvt_f32_f64_e32 v1, v[6:7]
	v_mad_u64_u32 v[6:7], s[8:9], s4, v8, 0
	global_store_dwordx2 v[4:5], v[0:1], off
	global_load_dwordx2 v[0:1], v78, s[12:13] offset:1152
	v_mad_u64_u32 v[7:8], s[8:9], s5, v8, v[7:8]
	v_lshlrev_b64 v[6:7], 3, v[6:7]
	s_waitcnt vmcnt(0)
	v_mul_f32_e32 v12, v3, v1
	v_mul_f32_e32 v1, v2, v1
	v_fmac_f32_e32 v12, v2, v0
	v_fma_f32 v2, v0, v3, -v1
	v_cvt_f64_f32_e32 v[0:1], v12
	v_cvt_f64_f32_e32 v[2:3], v2
	v_mul_f64 v[0:1], v[0:1], s[0:1]
	v_mul_f64 v[2:3], v[2:3], s[0:1]
	v_cvt_f32_f64_e32 v0, v[0:1]
	v_cvt_f32_f64_e32 v1, v[2:3]
	v_add_co_u32_e32 v2, vcc, v9, v6
	v_addc_co_u32_e32 v3, vcc, v10, v7, vcc
	global_store_dwordx2 v[2:3], v[0:1], off
	global_load_dwordx2 v[6:7], v78, s[12:13] offset:1248
	ds_read2_b64 v[0:3], v11 offset0:156 offset1:168
	v_add_co_u32_e32 v4, vcc, s6, v4
	s_waitcnt vmcnt(0) lgkmcnt(0)
	v_mul_f32_e32 v8, v1, v7
	v_mul_f32_e32 v7, v0, v7
	v_fmac_f32_e32 v8, v0, v6
	v_fma_f32 v6, v6, v1, -v7
	v_cvt_f64_f32_e32 v[0:1], v8
	v_cvt_f64_f32_e32 v[6:7], v6
	v_mov_b32_e32 v8, s7
	v_addc_co_u32_e32 v5, vcc, v5, v8, vcc
	v_mul_f64 v[0:1], v[0:1], s[0:1]
	v_mul_f64 v[6:7], v[6:7], s[0:1]
	v_cvt_f32_f64_e32 v0, v[0:1]
	v_cvt_f32_f64_e32 v1, v[6:7]
	global_store_dwordx2 v[4:5], v[0:1], off
	global_load_dwordx2 v[0:1], v78, s[12:13] offset:1344
	v_add_co_u32_e32 v4, vcc, s2, v4
	s_waitcnt vmcnt(0)
	v_mul_f32_e32 v6, v3, v1
	v_mul_f32_e32 v1, v2, v1
	v_fmac_f32_e32 v6, v2, v0
	v_fma_f32 v2, v0, v3, -v1
	v_cvt_f64_f32_e32 v[0:1], v6
	v_cvt_f64_f32_e32 v[2:3], v2
	v_mov_b32_e32 v6, s3
	v_addc_co_u32_e32 v5, vcc, v5, v6, vcc
	v_mul_f64 v[0:1], v[0:1], s[0:1]
	v_mul_f64 v[2:3], v[2:3], s[0:1]
	v_cvt_f32_f64_e32 v0, v[0:1]
	v_cvt_f32_f64_e32 v1, v[2:3]
	global_store_dwordx2 v[4:5], v[0:1], off
	global_load_dwordx2 v[6:7], v78, s[12:13] offset:1440
	ds_read2_b64 v[0:3], v11 offset0:180 offset1:192
	v_add_co_u32_e32 v4, vcc, s2, v4
	s_waitcnt vmcnt(0) lgkmcnt(0)
	v_mul_f32_e32 v8, v1, v7
	v_mul_f32_e32 v7, v0, v7
	v_fmac_f32_e32 v8, v0, v6
	v_fma_f32 v6, v6, v1, -v7
	v_cvt_f64_f32_e32 v[0:1], v8
	v_cvt_f64_f32_e32 v[6:7], v6
	v_mov_b32_e32 v8, s3
	v_addc_co_u32_e32 v5, vcc, v5, v8, vcc
	v_mul_f64 v[0:1], v[0:1], s[0:1]
	v_mul_f64 v[6:7], v[6:7], s[0:1]
	v_cvt_f32_f64_e32 v0, v[0:1]
	v_cvt_f32_f64_e32 v1, v[6:7]
	v_or_b32_e32 v6, 0xc0, v77
	global_store_dwordx2 v[4:5], v[0:1], off
	global_load_dwordx2 v[0:1], v78, s[12:13] offset:1536
	v_mad_u64_u32 v[4:5], s[2:3], s4, v6, 0
	s_waitcnt vmcnt(0)
	v_mul_f32_e32 v7, v3, v1
	v_mul_f32_e32 v1, v2, v1
	v_fmac_f32_e32 v7, v2, v0
	v_fma_f32 v2, v0, v3, -v1
	v_cvt_f64_f32_e32 v[0:1], v7
	v_cvt_f64_f32_e32 v[2:3], v2
	v_mul_f64 v[0:1], v[0:1], s[0:1]
	v_mul_f64 v[2:3], v[2:3], s[0:1]
	v_mad_u64_u32 v[5:6], s[0:1], s5, v6, v[5:6]
	v_lshlrev_b64 v[4:5], 3, v[4:5]
	v_cvt_f32_f64_e32 v0, v[0:1]
	v_cvt_f32_f64_e32 v1, v[2:3]
	v_add_co_u32_e32 v2, vcc, v9, v4
	v_addc_co_u32_e32 v3, vcc, v10, v5, vcc
	global_store_dwordx2 v[2:3], v[0:1], off
.LBB0_15:
	s_endpgm
	.section	.rodata,"a",@progbits
	.p2align	6, 0x0
	.amdhsa_kernel bluestein_single_back_len204_dim1_sp_op_CI_CI
		.amdhsa_group_segment_fixed_size 11424
		.amdhsa_private_segment_fixed_size 0
		.amdhsa_kernarg_size 104
		.amdhsa_user_sgpr_count 6
		.amdhsa_user_sgpr_private_segment_buffer 1
		.amdhsa_user_sgpr_dispatch_ptr 0
		.amdhsa_user_sgpr_queue_ptr 0
		.amdhsa_user_sgpr_kernarg_segment_ptr 1
		.amdhsa_user_sgpr_dispatch_id 0
		.amdhsa_user_sgpr_flat_scratch_init 0
		.amdhsa_user_sgpr_private_segment_size 0
		.amdhsa_uses_dynamic_stack 0
		.amdhsa_system_sgpr_private_segment_wavefront_offset 0
		.amdhsa_system_sgpr_workgroup_id_x 1
		.amdhsa_system_sgpr_workgroup_id_y 0
		.amdhsa_system_sgpr_workgroup_id_z 0
		.amdhsa_system_sgpr_workgroup_info 0
		.amdhsa_system_vgpr_workitem_id 0
		.amdhsa_next_free_vgpr 254
		.amdhsa_next_free_sgpr 18
		.amdhsa_reserve_vcc 1
		.amdhsa_reserve_flat_scratch 0
		.amdhsa_float_round_mode_32 0
		.amdhsa_float_round_mode_16_64 0
		.amdhsa_float_denorm_mode_32 3
		.amdhsa_float_denorm_mode_16_64 3
		.amdhsa_dx10_clamp 1
		.amdhsa_ieee_mode 1
		.amdhsa_fp16_overflow 0
		.amdhsa_exception_fp_ieee_invalid_op 0
		.amdhsa_exception_fp_denorm_src 0
		.amdhsa_exception_fp_ieee_div_zero 0
		.amdhsa_exception_fp_ieee_overflow 0
		.amdhsa_exception_fp_ieee_underflow 0
		.amdhsa_exception_fp_ieee_inexact 0
		.amdhsa_exception_int_div_zero 0
	.end_amdhsa_kernel
	.text
.Lfunc_end0:
	.size	bluestein_single_back_len204_dim1_sp_op_CI_CI, .Lfunc_end0-bluestein_single_back_len204_dim1_sp_op_CI_CI
                                        ; -- End function
	.section	.AMDGPU.csdata,"",@progbits
; Kernel info:
; codeLenInByte = 17036
; NumSgprs: 22
; NumVgprs: 254
; ScratchSize: 0
; MemoryBound: 0
; FloatMode: 240
; IeeeMode: 1
; LDSByteSize: 11424 bytes/workgroup (compile time only)
; SGPRBlocks: 2
; VGPRBlocks: 63
; NumSGPRsForWavesPerEU: 22
; NumVGPRsForWavesPerEU: 254
; Occupancy: 1
; WaveLimiterHint : 1
; COMPUTE_PGM_RSRC2:SCRATCH_EN: 0
; COMPUTE_PGM_RSRC2:USER_SGPR: 6
; COMPUTE_PGM_RSRC2:TRAP_HANDLER: 0
; COMPUTE_PGM_RSRC2:TGID_X_EN: 1
; COMPUTE_PGM_RSRC2:TGID_Y_EN: 0
; COMPUTE_PGM_RSRC2:TGID_Z_EN: 0
; COMPUTE_PGM_RSRC2:TIDIG_COMP_CNT: 0
	.type	__hip_cuid_64cacb07ddff51e7,@object ; @__hip_cuid_64cacb07ddff51e7
	.section	.bss,"aw",@nobits
	.globl	__hip_cuid_64cacb07ddff51e7
__hip_cuid_64cacb07ddff51e7:
	.byte	0                               ; 0x0
	.size	__hip_cuid_64cacb07ddff51e7, 1

	.ident	"AMD clang version 19.0.0git (https://github.com/RadeonOpenCompute/llvm-project roc-6.4.0 25133 c7fe45cf4b819c5991fe208aaa96edf142730f1d)"
	.section	".note.GNU-stack","",@progbits
	.addrsig
	.addrsig_sym __hip_cuid_64cacb07ddff51e7
	.amdgpu_metadata
---
amdhsa.kernels:
  - .args:
      - .actual_access:  read_only
        .address_space:  global
        .offset:         0
        .size:           8
        .value_kind:     global_buffer
      - .actual_access:  read_only
        .address_space:  global
        .offset:         8
        .size:           8
        .value_kind:     global_buffer
      - .actual_access:  read_only
        .address_space:  global
        .offset:         16
        .size:           8
        .value_kind:     global_buffer
      - .actual_access:  read_only
        .address_space:  global
        .offset:         24
        .size:           8
        .value_kind:     global_buffer
      - .actual_access:  read_only
        .address_space:  global
        .offset:         32
        .size:           8
        .value_kind:     global_buffer
      - .offset:         40
        .size:           8
        .value_kind:     by_value
      - .address_space:  global
        .offset:         48
        .size:           8
        .value_kind:     global_buffer
      - .address_space:  global
        .offset:         56
        .size:           8
        .value_kind:     global_buffer
      - .address_space:  global
        .offset:         64
        .size:           8
        .value_kind:     global_buffer
      - .address_space:  global
        .offset:         72
        .size:           8
        .value_kind:     global_buffer
      - .offset:         80
        .size:           4
        .value_kind:     by_value
      - .address_space:  global
        .offset:         88
        .size:           8
        .value_kind:     global_buffer
      - .address_space:  global
        .offset:         96
        .size:           8
        .value_kind:     global_buffer
    .group_segment_fixed_size: 11424
    .kernarg_segment_align: 8
    .kernarg_segment_size: 104
    .language:       OpenCL C
    .language_version:
      - 2
      - 0
    .max_flat_workgroup_size: 119
    .name:           bluestein_single_back_len204_dim1_sp_op_CI_CI
    .private_segment_fixed_size: 0
    .sgpr_count:     22
    .sgpr_spill_count: 0
    .symbol:         bluestein_single_back_len204_dim1_sp_op_CI_CI.kd
    .uniform_work_group_size: 1
    .uses_dynamic_stack: false
    .vgpr_count:     254
    .vgpr_spill_count: 0
    .wavefront_size: 64
amdhsa.target:   amdgcn-amd-amdhsa--gfx906
amdhsa.version:
  - 1
  - 2
...

	.end_amdgpu_metadata
